;; amdgpu-corpus repo=ROCm/rocFFT kind=compiled arch=gfx950 opt=O3
	.text
	.amdgcn_target "amdgcn-amd-amdhsa--gfx950"
	.amdhsa_code_object_version 6
	.protected	fft_rtc_back_len195_factors_13_5_3_wgs_52_tpt_13_half_op_CI_CI_sbrr_dirReg ; -- Begin function fft_rtc_back_len195_factors_13_5_3_wgs_52_tpt_13_half_op_CI_CI_sbrr_dirReg
	.globl	fft_rtc_back_len195_factors_13_5_3_wgs_52_tpt_13_half_op_CI_CI_sbrr_dirReg
	.p2align	8
	.type	fft_rtc_back_len195_factors_13_5_3_wgs_52_tpt_13_half_op_CI_CI_sbrr_dirReg,@function
fft_rtc_back_len195_factors_13_5_3_wgs_52_tpt_13_half_op_CI_CI_sbrr_dirReg: ; @fft_rtc_back_len195_factors_13_5_3_wgs_52_tpt_13_half_op_CI_CI_sbrr_dirReg
; %bb.0:
	s_load_dwordx4 s[12:15], s[0:1], 0x18
	s_load_dwordx4 s[8:11], s[0:1], 0x0
	;; [unrolled: 1-line block ×3, first 2 shown]
	v_mul_u32_u24_e32 v1, 0x13b2, v0
	v_lshrrev_b32_e32 v1, 16, v1
	s_waitcnt lgkmcnt(0)
	s_load_dwordx2 s[18:19], s[12:13], 0x0
	s_load_dwordx2 s[16:17], s[14:15], 0x0
	v_lshl_add_u32 v10, s2, 2, v1
	v_mov_b32_e32 v8, 0
	v_cmp_lt_u64_e64 s[2:3], s[10:11], 2
	v_mov_b32_e32 v11, v8
	s_and_b64 vcc, exec, s[2:3]
	v_mov_b64_e32 v[6:7], 0
	s_cbranch_vccnz .LBB0_8
; %bb.1:
	s_load_dwordx2 s[2:3], s[0:1], 0x10
	s_add_u32 s20, s14, 8
	s_addc_u32 s21, s15, 0
	s_add_u32 s22, s12, 8
	s_addc_u32 s23, s13, 0
	s_waitcnt lgkmcnt(0)
	s_add_u32 s24, s2, 8
	v_mov_b64_e32 v[6:7], 0
	s_addc_u32 s25, s3, 0
	s_mov_b64 s[26:27], 1
	v_mov_b64_e32 v[2:3], v[6:7]
.LBB0_2:                                ; =>This Inner Loop Header: Depth=1
	s_load_dwordx2 s[28:29], s[24:25], 0x0
                                        ; implicit-def: $vgpr4_vgpr5
	s_waitcnt lgkmcnt(0)
	v_or_b32_e32 v9, s29, v11
	v_cmp_ne_u64_e32 vcc, 0, v[8:9]
	s_and_saveexec_b64 s[2:3], vcc
	s_xor_b64 s[30:31], exec, s[2:3]
	s_cbranch_execz .LBB0_4
; %bb.3:                                ;   in Loop: Header=BB0_2 Depth=1
	v_cvt_f32_u32_e32 v4, s28
	v_cvt_f32_u32_e32 v5, s29
	s_sub_u32 s2, 0, s28
	s_subb_u32 s3, 0, s29
	v_fmac_f32_e32 v4, 0x4f800000, v5
	v_rcp_f32_e32 v4, v4
	s_nop 0
	v_mul_f32_e32 v4, 0x5f7ffffc, v4
	v_mul_f32_e32 v5, 0x2f800000, v4
	v_trunc_f32_e32 v5, v5
	v_fmac_f32_e32 v4, 0xcf800000, v5
	v_cvt_u32_f32_e32 v9, v5
	v_cvt_u32_f32_e32 v14, v4
	v_mul_lo_u32 v4, s2, v9
	v_mul_hi_u32 v12, s2, v14
	v_mul_lo_u32 v5, s3, v14
	v_add_u32_e32 v12, v12, v4
	v_mul_lo_u32 v15, s2, v14
	v_add_u32_e32 v16, v12, v5
	v_mul_hi_u32 v4, v14, v15
	v_mul_hi_u32 v13, v14, v16
	v_mul_lo_u32 v12, v14, v16
	v_mov_b32_e32 v5, v8
	v_lshl_add_u64 v[4:5], v[4:5], 0, v[12:13]
	v_mul_hi_u32 v13, v9, v15
	v_mul_lo_u32 v15, v9, v15
	v_add_co_u32_e32 v4, vcc, v4, v15
	v_mul_hi_u32 v12, v9, v16
	s_nop 0
	v_addc_co_u32_e32 v4, vcc, v5, v13, vcc
	v_mov_b32_e32 v5, v8
	s_nop 0
	v_addc_co_u32_e32 v13, vcc, 0, v12, vcc
	v_mul_lo_u32 v12, v9, v16
	v_lshl_add_u64 v[4:5], v[4:5], 0, v[12:13]
	v_add_co_u32_e32 v14, vcc, v14, v4
	v_mul_lo_u32 v12, s2, v14
	s_nop 0
	v_addc_co_u32_e32 v9, vcc, v9, v5, vcc
	v_mul_lo_u32 v4, s2, v9
	v_mul_hi_u32 v5, s2, v14
	v_add_u32_e32 v4, v5, v4
	v_mul_lo_u32 v5, s3, v14
	v_add_u32_e32 v15, v4, v5
	v_mul_hi_u32 v17, v9, v12
	v_mul_lo_u32 v18, v9, v12
	v_mul_hi_u32 v5, v14, v15
	v_mul_lo_u32 v4, v14, v15
	v_mul_hi_u32 v12, v14, v12
	v_mov_b32_e32 v13, v8
	v_lshl_add_u64 v[4:5], v[12:13], 0, v[4:5]
	v_add_co_u32_e32 v4, vcc, v4, v18
	v_mul_hi_u32 v16, v9, v15
	s_nop 0
	v_addc_co_u32_e32 v4, vcc, v5, v17, vcc
	v_mul_lo_u32 v12, v9, v15
	s_nop 0
	v_addc_co_u32_e32 v13, vcc, 0, v16, vcc
	v_mov_b32_e32 v5, v8
	v_lshl_add_u64 v[4:5], v[4:5], 0, v[12:13]
	v_add_co_u32_e32 v14, vcc, v14, v4
	v_mul_hi_u32 v12, v10, v14
	s_nop 0
	v_addc_co_u32_e32 v9, vcc, v9, v5, vcc
	v_mad_u64_u32 v[4:5], s[2:3], v10, v9, 0
	v_mov_b32_e32 v13, v8
	v_lshl_add_u64 v[4:5], v[12:13], 0, v[4:5]
	v_mad_u64_u32 v[14:15], s[2:3], v11, v14, 0
	v_add_co_u32_e32 v4, vcc, v4, v14
	v_mad_u64_u32 v[12:13], s[2:3], v11, v9, 0
	s_nop 0
	v_addc_co_u32_e32 v4, vcc, v5, v15, vcc
	v_mov_b32_e32 v5, v8
	s_nop 0
	v_addc_co_u32_e32 v13, vcc, 0, v13, vcc
	v_lshl_add_u64 v[4:5], v[4:5], 0, v[12:13]
	v_mul_lo_u32 v9, s29, v4
	v_mul_lo_u32 v14, s28, v5
	v_mad_u64_u32 v[12:13], s[2:3], s28, v4, 0
	v_add3_u32 v9, v13, v14, v9
	v_sub_u32_e32 v13, v11, v9
	v_mov_b32_e32 v14, s29
	v_sub_co_u32_e32 v16, vcc, v10, v12
	s_nop 1
	v_subb_co_u32_e64 v12, s[2:3], v13, v14, vcc
	v_subrev_co_u32_e64 v13, s[2:3], s28, v16
	v_subb_co_u32_e32 v9, vcc, v11, v9, vcc
	s_nop 0
	v_subbrev_co_u32_e64 v12, s[2:3], 0, v12, s[2:3]
	v_cmp_le_u32_e64 s[2:3], s29, v12
	v_cmp_le_u32_e32 vcc, s29, v9
	s_nop 0
	v_cndmask_b32_e64 v14, 0, -1, s[2:3]
	v_cmp_le_u32_e64 s[2:3], s28, v13
	s_nop 1
	v_cndmask_b32_e64 v13, 0, -1, s[2:3]
	v_cmp_eq_u32_e64 s[2:3], s29, v12
	s_nop 1
	v_cndmask_b32_e64 v17, v14, v13, s[2:3]
	v_lshl_add_u64 v[12:13], v[4:5], 0, 2
	v_lshl_add_u64 v[14:15], v[4:5], 0, 1
	v_cmp_ne_u32_e64 s[2:3], 0, v17
	s_nop 1
	v_cndmask_b32_e64 v13, v15, v13, s[2:3]
	v_cndmask_b32_e64 v15, 0, -1, vcc
	v_cmp_le_u32_e32 vcc, s28, v16
	s_nop 1
	v_cndmask_b32_e64 v16, 0, -1, vcc
	v_cmp_eq_u32_e32 vcc, s29, v9
	s_nop 1
	v_cndmask_b32_e32 v9, v15, v16, vcc
	v_cmp_ne_u32_e32 vcc, 0, v9
	v_cndmask_b32_e64 v9, v14, v12, s[2:3]
	s_nop 0
	v_cndmask_b32_e32 v5, v5, v13, vcc
	v_cndmask_b32_e32 v4, v4, v9, vcc
.LBB0_4:                                ;   in Loop: Header=BB0_2 Depth=1
	s_andn2_saveexec_b64 s[2:3], s[30:31]
	s_cbranch_execz .LBB0_6
; %bb.5:                                ;   in Loop: Header=BB0_2 Depth=1
	v_cvt_f32_u32_e32 v4, s28
	s_sub_i32 s30, 0, s28
	v_rcp_iflag_f32_e32 v4, v4
	s_nop 0
	v_mul_f32_e32 v4, 0x4f7ffffe, v4
	v_cvt_u32_f32_e32 v4, v4
	v_mul_lo_u32 v5, s30, v4
	v_mul_hi_u32 v5, v4, v5
	v_add_u32_e32 v4, v4, v5
	v_mul_hi_u32 v4, v10, v4
	v_mul_lo_u32 v5, v4, s28
	v_sub_u32_e32 v5, v10, v5
	v_add_u32_e32 v9, 1, v4
	v_subrev_u32_e32 v12, s28, v5
	v_cmp_le_u32_e32 vcc, s28, v5
	s_nop 1
	v_cndmask_b32_e32 v5, v5, v12, vcc
	v_cndmask_b32_e32 v4, v4, v9, vcc
	v_add_u32_e32 v9, 1, v4
	v_cmp_le_u32_e32 vcc, s28, v5
	v_mov_b32_e32 v5, v8
	s_nop 0
	v_cndmask_b32_e32 v4, v4, v9, vcc
.LBB0_6:                                ;   in Loop: Header=BB0_2 Depth=1
	s_or_b64 exec, exec, s[2:3]
	v_mad_u64_u32 v[12:13], s[2:3], v4, s28, 0
	s_load_dwordx2 s[2:3], s[22:23], 0x0
	v_mul_lo_u32 v9, v5, s28
	v_mul_lo_u32 v14, v4, s29
	s_load_dwordx2 s[28:29], s[20:21], 0x0
	s_add_u32 s26, s26, 1
	v_add3_u32 v9, v13, v14, v9
	v_sub_co_u32_e32 v10, vcc, v10, v12
	s_addc_u32 s27, s27, 0
	s_nop 0
	v_subb_co_u32_e32 v9, vcc, v11, v9, vcc
	s_add_u32 s20, s20, 8
	s_waitcnt lgkmcnt(0)
	v_mul_lo_u32 v11, s2, v9
	v_mul_lo_u32 v12, s3, v10
	v_mad_u64_u32 v[6:7], s[2:3], s2, v10, v[6:7]
	s_addc_u32 s21, s21, 0
	v_add3_u32 v7, v12, v7, v11
	v_mul_lo_u32 v9, s28, v9
	v_mul_lo_u32 v11, s29, v10
	v_mad_u64_u32 v[2:3], s[2:3], s28, v10, v[2:3]
	s_add_u32 s22, s22, 8
	v_add3_u32 v3, v11, v3, v9
	s_addc_u32 s23, s23, 0
	v_mov_b64_e32 v[10:11], s[10:11]
	s_add_u32 s24, s24, 8
	v_cmp_ge_u64_e32 vcc, s[26:27], v[10:11]
	s_addc_u32 s25, s25, 0
	s_cbranch_vccnz .LBB0_9
; %bb.7:                                ;   in Loop: Header=BB0_2 Depth=1
	v_mov_b64_e32 v[10:11], v[4:5]
	s_branch .LBB0_2
.LBB0_8:
	v_mov_b64_e32 v[2:3], v[6:7]
	v_mov_b64_e32 v[4:5], v[10:11]
.LBB0_9:
	s_load_dwordx2 s[0:1], s[0:1], 0x28
	s_lshl_b64 s[10:11], s[10:11], 3
	s_add_u32 s2, s14, s10
	v_and_b32_e32 v1, 3, v1
	s_addc_u32 s3, s15, s11
	s_waitcnt lgkmcnt(0)
	v_cmp_gt_u64_e32 vcc, s[0:1], v[4:5]
	v_cmp_le_u64_e64 s[0:1], s[0:1], v[4:5]
                                        ; implicit-def: $vgpr30
                                        ; implicit-def: $vgpr33
	s_and_saveexec_b64 s[14:15], s[0:1]
	s_xor_b64 s[0:1], exec, s[14:15]
; %bb.10:
	s_mov_b32 s14, 0x13b13b14
	v_mul_hi_u32 v6, v0, s14
	v_mul_u32_u24_e32 v6, 13, v6
	v_sub_u32_e32 v30, v0, v6
	v_add_u32_e32 v33, 13, v30
                                        ; implicit-def: $vgpr0
                                        ; implicit-def: $vgpr6_vgpr7
; %bb.11:
	s_or_saveexec_b64 s[0:1], s[0:1]
	v_mul_u32_u24_e32 v1, 0xc3, v1
	v_lshlrev_b32_e32 v34, 2, v1
	s_xor_b64 exec, exec, s[0:1]
	s_cbranch_execz .LBB0_13
; %bb.12:
	s_add_u32 s10, s12, s10
	s_addc_u32 s11, s13, s11
	s_load_dwordx2 s[10:11], s[10:11], 0x0
	s_mov_b32 s12, 0x13b13b14
	s_waitcnt lgkmcnt(0)
	v_mul_lo_u32 v1, s11, v4
	v_mul_lo_u32 v10, s10, v5
	v_mad_u64_u32 v[8:9], s[10:11], s10, v4, 0
	v_add3_u32 v9, v9, v10, v1
	v_mul_hi_u32 v1, v0, s12
	v_mul_u32_u24_e32 v1, 13, v1
	v_sub_u32_e32 v30, v0, v1
	v_mad_u64_u32 v[0:1], s[10:11], s18, v30, 0
	v_mov_b32_e32 v10, v1
	v_lshl_add_u64 v[8:9], v[8:9], 2, s[4:5]
	v_add_u32_e32 v33, 13, v30
	v_mad_u64_u32 v[10:11], s[10:11], s19, v30, v[10:11]
	v_lshl_add_u64 v[6:7], v[6:7], 2, v[8:9]
	v_mad_u64_u32 v[8:9], s[4:5], s18, v33, 0
	v_mov_b32_e32 v1, v10
	v_mov_b32_e32 v10, v9
	v_mad_u64_u32 v[10:11], s[4:5], s19, v33, v[10:11]
	v_add_u32_e32 v13, 26, v30
	v_mov_b32_e32 v9, v10
	v_mad_u64_u32 v[10:11], s[4:5], s18, v13, 0
	v_mov_b32_e32 v12, v11
	v_mad_u64_u32 v[12:13], s[4:5], s19, v13, v[12:13]
	v_add_u32_e32 v15, 39, v30
	v_mov_b32_e32 v11, v12
	v_mad_u64_u32 v[12:13], s[4:5], s18, v15, 0
	;; [unrolled: 5-line block ×6, first 2 shown]
	v_mov_b32_e32 v22, v21
	v_mad_u64_u32 v[22:23], s[4:5], s19, v23, v[22:23]
	v_lshl_add_u64 v[0:1], v[0:1], 2, v[6:7]
	v_lshl_add_u64 v[8:9], v[8:9], 2, v[6:7]
	v_mov_b32_e32 v21, v22
	v_lshl_add_u64 v[10:11], v[10:11], 2, v[6:7]
	v_lshl_add_u64 v[12:13], v[12:13], 2, v[6:7]
	;; [unrolled: 1-line block ×6, first 2 shown]
	global_load_dword v22, v[0:1], off
	global_load_dword v23, v[8:9], off
	;; [unrolled: 1-line block ×8, first 2 shown]
	v_add_u32_e32 v9, 0x68, v30
	v_mad_u64_u32 v[0:1], s[4:5], s18, v9, 0
	v_mov_b32_e32 v8, v1
	v_mad_u64_u32 v[8:9], s[4:5], s19, v9, v[8:9]
	v_add_u32_e32 v11, 0x75, v30
	v_mov_b32_e32 v1, v8
	v_mad_u64_u32 v[8:9], s[4:5], s18, v11, 0
	v_mov_b32_e32 v10, v9
	v_mad_u64_u32 v[10:11], s[4:5], s19, v11, v[10:11]
	v_add_u32_e32 v13, 0x82, v30
	v_mov_b32_e32 v9, v10
	;; [unrolled: 5-line block ×6, first 2 shown]
	v_mad_u64_u32 v[18:19], s[4:5], s18, v21, 0
	v_mov_b32_e32 v20, v19
	v_mad_u64_u32 v[20:21], s[4:5], s19, v21, v[20:21]
	v_lshl_add_u64 v[0:1], v[0:1], 2, v[6:7]
	v_mov_b32_e32 v19, v20
	v_lshl_add_u64 v[8:9], v[8:9], 2, v[6:7]
	v_lshl_add_u64 v[10:11], v[10:11], 2, v[6:7]
	;; [unrolled: 1-line block ×6, first 2 shown]
	global_load_dword v18, v[0:1], off
	global_load_dword v19, v[8:9], off
	;; [unrolled: 1-line block ×7, first 2 shown]
	v_lshlrev_b32_e32 v0, 2, v30
	v_add3_u32 v0, 0, v34, v0
	s_waitcnt vmcnt(13)
	ds_write2_b32 v0, v22, v23 offset1:13
	s_waitcnt vmcnt(11)
	ds_write2_b32 v0, v24, v25 offset0:26 offset1:39
	s_waitcnt vmcnt(9)
	ds_write2_b32 v0, v26, v27 offset0:52 offset1:65
	;; [unrolled: 2-line block ×6, first 2 shown]
	s_waitcnt vmcnt(0)
	ds_write_b32 v0, v35 offset:728
.LBB0_13:
	s_or_b64 exec, exec, s[0:1]
	v_lshlrev_b32_e32 v0, 2, v30
	v_add_u32_e32 v1, 0, v0
	v_add_u32_e32 v31, 0, v34
	v_add_u32_e32 v32, v1, v34
	s_load_dwordx2 s[2:3], s[2:3], 0x0
	s_waitcnt lgkmcnt(0)
	; wave barrier
	s_waitcnt lgkmcnt(0)
	v_add_u32_e32 v35, v31, v0
	ds_read2_b32 v[6:7], v32 offset0:13 offset1:15
	ds_read2_b32 v[18:19], v32 offset0:28 offset1:30
	;; [unrolled: 1-line block ×12, first 2 shown]
	ds_read_b32 v1, v32 offset:772
	ds_read_b32 v36, v35
	s_waitcnt lgkmcnt(4)
	v_pk_add_f16 v37, v7, v9 neg_lo:[0,1] neg_hi:[0,1]
	s_mov_b32 s27, 0xb770
	v_pk_add_f16 v38, v9, v7
	v_mul_f16_sdwa v41, v37, s27 dst_sel:DWORD dst_unused:UNUSED_PAD src0_sel:WORD_1 src1_sel:DWORD
	s_movk_i32 s13, 0x3b15
	v_fma_f16 v39, v38, s13, v41
	v_mul_f16_sdwa v43, v38, s13 dst_sel:DWORD dst_unused:UNUSED_PAD src0_sel:WORD_1 src1_sel:DWORD
	s_movk_i32 s10, 0x3770
	s_waitcnt lgkmcnt(0)
	v_add_f16_e32 v42, v36, v39
	v_fma_f16 v39, v37, s10, v43
	v_add_f16_sdwa v44, v36, v39 dst_sel:DWORD dst_unused:UNUSED_PAD src0_sel:WORD_1 src1_sel:DWORD
	s_mov_b32 s24, 0xba95
	v_pk_add_f16 v39, v19, v11 neg_lo:[0,1] neg_hi:[0,1]
	s_movk_i32 s15, 0x388b
	v_pk_add_f16 v40, v11, v19
	v_mul_f16_sdwa v45, v39, s24 dst_sel:DWORD dst_unused:UNUSED_PAD src0_sel:WORD_1 src1_sel:DWORD
	v_fma_f16 v46, v40, s15, v45
	v_add_f16_e32 v42, v46, v42
	v_mul_f16_sdwa v46, v40, s15 dst_sel:DWORD dst_unused:UNUSED_PAD src0_sel:WORD_1 src1_sel:DWORD
	s_movk_i32 s20, 0x3a95
	s_mov_b32 s29, 0xbbf1
	v_fma_f16 v47, v39, s20, v46
	v_pk_add_f16 v48, v21, v17 neg_lo:[0,1] neg_hi:[0,1]
	s_movk_i32 s12, 0x2fb7
	v_add_f16_e32 v44, v47, v44
	v_pk_add_f16 v47, v17, v21
	v_mul_f16_sdwa v49, v48, s29 dst_sel:DWORD dst_unused:UNUSED_PAD src0_sel:WORD_1 src1_sel:DWORD
	v_fma_f16 v50, v47, s12, v49
	s_movk_i32 s11, 0x3bf1
	v_add_f16_e32 v42, v50, v42
	v_mul_f16_sdwa v50, v47, s12 dst_sel:DWORD dst_unused:UNUSED_PAD src0_sel:WORD_1 src1_sel:DWORD
	s_mov_b32 s14, 0xbb7b
	v_fma_f16 v51, v48, s11, v50
	v_pk_add_f16 v52, v23, v29 neg_lo:[0,1] neg_hi:[0,1]
	s_mov_b32 s19, 0xb5ac
	v_add_f16_e32 v44, v51, v44
	v_pk_add_f16 v51, v29, v23
	v_mul_f16_sdwa v53, v52, s14 dst_sel:DWORD dst_unused:UNUSED_PAD src0_sel:WORD_1 src1_sel:DWORD
	v_fma_f16 v54, v51, s19, v53
	v_pk_add_f16 v7, v36, v7
	s_movk_i32 s28, 0x3b7b
	v_add_f16_e32 v42, v54, v42
	v_mul_f16_sdwa v54, v51, s19 dst_sel:DWORD dst_unused:UNUSED_PAD src0_sel:WORD_1 src1_sel:DWORD
	v_pk_add_f16 v7, v7, v19
	s_mov_b32 s18, 0xb94e
	v_fma_f16 v55, v52, s28, v54
	v_pk_add_f16 v56, v25, v15 neg_lo:[0,1] neg_hi:[0,1]
	v_pk_add_f16 v7, v7, v21
	s_mov_b32 s22, 0xb9fd
	v_add_f16_e32 v44, v55, v44
	v_pk_add_f16 v55, v15, v25
	v_mul_f16_sdwa v57, v56, s18 dst_sel:DWORD dst_unused:UNUSED_PAD src0_sel:WORD_1 src1_sel:DWORD
	v_pk_add_f16 v7, v7, v23
	v_fma_f16 v58, v55, s22, v57
	v_pk_add_f16 v7, v7, v25
	s_movk_i32 s26, 0x394e
	v_add_f16_e32 v42, v58, v42
	v_mul_f16_sdwa v58, v55, s22 dst_sel:DWORD dst_unused:UNUSED_PAD src0_sel:WORD_1 src1_sel:DWORD
	v_pk_add_f16 v7, v7, v27
	v_fma_f16 v59, v56, s26, v58
	v_pk_add_f16 v7, v7, v13
	s_mov_b32 s23, 0xb3a8
	v_add_f16_e32 v44, v59, v44
	v_pk_add_f16 v59, v27, v13 neg_lo:[0,1] neg_hi:[0,1]
	v_pk_add_f16 v7, v7, v15
	s_mov_b32 s25, 0xbbc4
	v_pk_mul_f16 v60, v59, s23 op_sel_hi:[1,0]
	v_pk_add_f16 v61, v13, v27
	v_pk_add_f16 v7, v7, v29
	s_mov_b32 s21, 0xffff
	v_pk_fma_f16 v62, v61, s25, v60 op_sel:[0,0,1] op_sel_hi:[1,0,0]
	v_pk_fma_f16 v63, v61, s25, v60 op_sel:[0,0,1] op_sel_hi:[1,0,0] neg_lo:[0,0,1] neg_hi:[0,0,1]
	v_pk_add_f16 v7, v7, v17
	v_bfi_b32 v62, s21, v62, v63
	v_pack_b32_f16 v42, v42, v44
	v_pk_add_f16 v7, v7, v11
	v_mad_u32_u24 v63, v30, 52, v31
	v_pk_add_f16 v13, v62, v42
	v_pk_mul_f16 v15, v37, s24 op_sel_hi:[1,0]
	v_pk_add_f16 v7, v7, v9
	s_waitcnt lgkmcnt(0)
	; wave barrier
	ds_write2_b32 v63, v7, v13 offset1:1
	v_pk_fma_f16 v7, v38, s15, v15 op_sel:[0,0,1] op_sel_hi:[1,0,0]
	v_pk_fma_f16 v9, v38, s15, v15 op_sel:[0,0,1] op_sel_hi:[1,0,0] neg_lo:[0,0,1] neg_hi:[0,0,1]
	v_pk_mul_f16 v13, v39, s14 op_sel_hi:[1,0]
	v_bfi_b32 v11, s21, v7, v9
	v_pk_fma_f16 v15, v40, s19, v13 op_sel:[0,0,1] op_sel_hi:[1,0,0]
	v_pk_fma_f16 v13, v40, s19, v13 op_sel:[0,0,1] op_sel_hi:[1,0,0] neg_lo:[0,0,1] neg_hi:[0,0,1]
	v_pk_add_f16 v11, v36, v11
	v_bfi_b32 v17, s21, v15, v13
	v_pk_add_f16 v11, v17, v11
	v_mul_f16_sdwa v17, v37, s29 dst_sel:DWORD dst_unused:UNUSED_PAD src0_sel:WORD_1 src1_sel:DWORD
	v_fma_f16 v19, v38, s12, v17
	v_mul_f16_sdwa v21, v39, s23 dst_sel:DWORD dst_unused:UNUSED_PAD src0_sel:WORD_1 src1_sel:DWORD
	v_add_f16_e32 v19, v36, v19
	v_fma_f16 v23, v40, s25, v21
	v_add_f16_e32 v19, v23, v19
	v_mul_f16_sdwa v23, v38, s12 dst_sel:DWORD dst_unused:UNUSED_PAD src0_sel:WORD_1 src1_sel:DWORD
	v_fma_f16 v25, v37, s11, v23
	s_movk_i32 s30, 0x33a8
	v_mul_f16_sdwa v27, v40, s25 dst_sel:DWORD dst_unused:UNUSED_PAD src0_sel:WORD_1 src1_sel:DWORD
	v_add_f16_sdwa v25, v36, v25 dst_sel:DWORD dst_unused:UNUSED_PAD src0_sel:WORD_1 src1_sel:DWORD
	v_fma_f16 v29, v39, s30, v27
	v_add_f16_e32 v25, v29, v25
	v_pk_mul_f16 v29, v48, s23 op_sel_hi:[1,0]
	v_fma_f16 v17, v38, s12, -v17
	v_pk_fma_f16 v42, v47, s25, v29 op_sel:[0,0,1] op_sel_hi:[1,0,0]
	v_pk_fma_f16 v29, v47, s25, v29 op_sel:[0,0,1] op_sel_hi:[1,0,0] neg_lo:[0,0,1] neg_hi:[0,0,1]
	v_add_f16_e32 v17, v36, v17
	v_bfi_b32 v44, s21, v42, v29
	v_pk_add_f16 v11, v44, v11
	v_mul_f16_sdwa v44, v48, s28 dst_sel:DWORD dst_unused:UNUSED_PAD src0_sel:WORD_1 src1_sel:DWORD
	v_fma_f16 v62, v47, s19, v44
	v_add_f16_e32 v19, v62, v19
	v_mul_f16_sdwa v62, v47, s19 dst_sel:DWORD dst_unused:UNUSED_PAD src0_sel:WORD_1 src1_sel:DWORD
	v_fma_f16 v64, v48, s14, v62
	v_add_f16_e32 v25, v64, v25
	v_pk_mul_f16 v64, v52, s26 op_sel_hi:[1,0]
	v_fma_f16 v21, v40, s25, -v21
	v_pk_fma_f16 v65, v51, s22, v64 op_sel:[0,0,1] op_sel_hi:[1,0,0]
	v_pk_fma_f16 v64, v51, s22, v64 op_sel:[0,0,1] op_sel_hi:[1,0,0] neg_lo:[0,0,1] neg_hi:[0,0,1]
	v_add_f16_e32 v17, v21, v17
	v_bfi_b32 v66, s21, v65, v64
	v_pk_add_f16 v11, v66, v11
	v_mul_f16_sdwa v66, v52, s10 dst_sel:DWORD dst_unused:UNUSED_PAD src0_sel:WORD_1 src1_sel:DWORD
	v_fma_f16 v67, v51, s13, v66
	v_add_f16_e32 v19, v67, v19
	v_mul_f16_sdwa v67, v51, s13 dst_sel:DWORD dst_unused:UNUSED_PAD src0_sel:WORD_1 src1_sel:DWORD
	v_fma_f16 v68, v52, s27, v67
	v_add_f16_e32 v25, v68, v25
	v_pk_mul_f16 v68, v56, s11 op_sel_hi:[1,0]
	v_fma_f16 v21, v37, s29, v23
	v_pk_fma_f16 v69, v55, s12, v68 op_sel:[0,0,1] op_sel_hi:[1,0,0]
	v_pk_fma_f16 v68, v55, s12, v68 op_sel:[0,0,1] op_sel_hi:[1,0,0] neg_lo:[0,0,1] neg_hi:[0,0,1]
	v_add_f16_sdwa v21, v36, v21 dst_sel:DWORD dst_unused:UNUSED_PAD src0_sel:WORD_1 src1_sel:DWORD
	v_bfi_b32 v70, s21, v69, v68
	v_pk_add_f16 v11, v70, v11
	v_mul_f16_sdwa v70, v56, s24 dst_sel:DWORD dst_unused:UNUSED_PAD src0_sel:WORD_1 src1_sel:DWORD
	v_fma_f16 v71, v55, s15, v70
	v_add_f16_e32 v19, v71, v19
	v_mul_f16_sdwa v71, v55, s15 dst_sel:DWORD dst_unused:UNUSED_PAD src0_sel:WORD_1 src1_sel:DWORD
	v_fma_f16 v72, v56, s20, v71
	v_add_f16_e32 v25, v72, v25
	v_pk_mul_f16 v72, v59, s10 op_sel_hi:[1,0]
	v_fma_f16 v23, v39, s23, v27
	v_pk_fma_f16 v73, v61, s13, v72 op_sel:[0,0,1] op_sel_hi:[1,0,0]
	v_pk_fma_f16 v72, v61, s13, v72 op_sel:[0,0,1] op_sel_hi:[1,0,0] neg_lo:[0,0,1] neg_hi:[0,0,1]
	v_add_f16_e32 v21, v23, v21
	v_bfi_b32 v74, s21, v73, v72
	v_pk_add_f16 v11, v74, v11
	v_mul_f16_sdwa v74, v59, s18 dst_sel:DWORD dst_unused:UNUSED_PAD src0_sel:WORD_1 src1_sel:DWORD
	v_fma_f16 v75, v61, s22, v74
	v_add_f16_e32 v19, v75, v19
	v_mul_f16_sdwa v75, v61, s22 dst_sel:DWORD dst_unused:UNUSED_PAD src0_sel:WORD_1 src1_sel:DWORD
	v_fma_f16 v76, v59, s26, v75
	v_add_f16_e32 v25, v76, v25
	v_pack_b32_f16 v19, v19, v25
	ds_write2_b32 v63, v11, v19 offset0:2 offset1:3
	v_fma_f16 v11, v38, s13, -v41
	v_add_f16_e32 v11, v36, v11
	v_fma_f16 v19, v40, s15, -v45
	v_add_f16_e32 v11, v19, v11
	v_fma_f16 v19, v37, s27, v43
	v_add_f16_sdwa v19, v36, v19 dst_sel:DWORD dst_unused:UNUSED_PAD src0_sel:WORD_1 src1_sel:DWORD
	v_fma_f16 v25, v39, s24, v46
	v_mul_f16_sdwa v23, v37, s14 dst_sel:DWORD dst_unused:UNUSED_PAD src0_sel:WORD_1 src1_sel:DWORD
	v_add_f16_e32 v19, v25, v19
	v_fma_f16 v25, v38, s19, v23
	v_mul_f16_sdwa v27, v39, s26 dst_sel:DWORD dst_unused:UNUSED_PAD src0_sel:WORD_1 src1_sel:DWORD
	v_add_f16_e32 v25, v36, v25
	v_fma_f16 v41, v40, s22, v27
	v_fma_f16 v23, v38, s19, -v23
	v_add_f16_e32 v25, v41, v25
	v_mul_f16_sdwa v41, v38, s19 dst_sel:DWORD dst_unused:UNUSED_PAD src0_sel:WORD_1 src1_sel:DWORD
	v_add_f16_e32 v23, v36, v23
	v_fma_f16 v27, v40, s22, -v27
	v_fma_f16 v44, v47, s19, -v44
	v_mul_f16_sdwa v45, v40, s22 dst_sel:DWORD dst_unused:UNUSED_PAD src0_sel:WORD_1 src1_sel:DWORD
	v_add_f16_e32 v23, v27, v23
	v_fma_f16 v27, v37, s14, v41
	v_fma_f16 v49, v47, s12, -v49
	v_add_f16_e32 v17, v44, v17
	v_fma_f16 v44, v48, s28, v62
	v_fma_f16 v43, v37, s28, v41
	v_add_f16_sdwa v27, v36, v27 dst_sel:DWORD dst_unused:UNUSED_PAD src0_sel:WORD_1 src1_sel:DWORD
	v_fma_f16 v41, v39, s26, v45
	v_add_f16_e32 v11, v49, v11
	v_fma_f16 v49, v48, s29, v50
	v_add_f16_e32 v21, v44, v21
	v_mul_f16_sdwa v44, v48, s10 dst_sel:DWORD dst_unused:UNUSED_PAD src0_sel:WORD_1 src1_sel:DWORD
	v_add_f16_sdwa v43, v36, v43 dst_sel:DWORD dst_unused:UNUSED_PAD src0_sel:WORD_1 src1_sel:DWORD
	v_fma_f16 v46, v39, s18, v45
	v_add_f16_e32 v27, v41, v27
	v_mul_f16_sdwa v41, v37, s18 dst_sel:DWORD dst_unused:UNUSED_PAD src0_sel:WORD_1 src1_sel:DWORD
	v_add_f16_e32 v19, v49, v19
	v_fma_f16 v49, v47, s13, v44
	v_add_f16_e32 v43, v46, v43
	v_fma_f16 v45, v38, s22, v41
	v_mul_f16_sdwa v46, v39, s11 dst_sel:DWORD dst_unused:UNUSED_PAD src0_sel:WORD_1 src1_sel:DWORD
	v_add_f16_e32 v25, v49, v25
	v_mul_f16_sdwa v49, v47, s13 dst_sel:DWORD dst_unused:UNUSED_PAD src0_sel:WORD_1 src1_sel:DWORD
	v_fma_f16 v44, v47, s13, -v44
	v_add_f16_e32 v45, v36, v45
	v_fma_f16 v76, v40, s12, v46
	v_fma_f16 v41, v38, s22, -v41
	v_add_f16_e32 v23, v44, v23
	v_fma_f16 v44, v48, s10, v49
	v_add_f16_e32 v45, v76, v45
	v_mul_f16_sdwa v76, v38, s22 dst_sel:DWORD dst_unused:UNUSED_PAD src0_sel:WORD_1 src1_sel:DWORD
	v_add_f16_e32 v41, v36, v41
	v_fma_f16 v46, v40, s12, -v46
	v_add_f16_e32 v27, v44, v27
	v_mul_f16_sdwa v44, v48, s24 dst_sel:DWORD dst_unused:UNUSED_PAD src0_sel:WORD_1 src1_sel:DWORD
	v_mul_f16_sdwa v78, v40, s12 dst_sel:DWORD dst_unused:UNUSED_PAD src0_sel:WORD_1 src1_sel:DWORD
	v_add_f16_e32 v41, v46, v41
	v_fma_f16 v46, v37, s18, v76
	v_fma_f16 v50, v48, s27, v49
	;; [unrolled: 1-line block ×4, first 2 shown]
	v_add_f16_sdwa v46, v36, v46 dst_sel:DWORD dst_unused:UNUSED_PAD src0_sel:WORD_1 src1_sel:DWORD
	v_fma_f16 v76, v39, s11, v78
	v_add_f16_e32 v45, v49, v45
	v_mul_f16_sdwa v49, v47, s15 dst_sel:DWORD dst_unused:UNUSED_PAD src0_sel:WORD_1 src1_sel:DWORD
	v_fma_f16 v44, v47, s15, -v44
	v_add_f16_e32 v46, v76, v46
	v_add_f16_e32 v41, v44, v41
	v_fma_f16 v44, v48, s24, v49
	v_add_f16_e32 v44, v44, v46
	v_fma_f16 v46, v51, s19, -v53
	v_add_f16_e32 v11, v46, v11
	v_fma_f16 v46, v52, s14, v54
	v_add_f16_e32 v19, v46, v19
	v_fma_f16 v46, v51, s13, -v66
	v_add_f16_e32 v17, v46, v17
	v_fma_f16 v46, v52, s10, v67
	v_add_f16_e32 v21, v46, v21
	v_mul_f16_sdwa v46, v52, s29 dst_sel:DWORD dst_unused:UNUSED_PAD src0_sel:WORD_1 src1_sel:DWORD
	v_add_f16_e32 v43, v50, v43
	v_fma_f16 v50, v48, s20, v49
	v_fma_f16 v49, v51, s12, v46
	v_add_f16_e32 v25, v49, v25
	v_mul_f16_sdwa v49, v51, s12 dst_sel:DWORD dst_unused:UNUSED_PAD src0_sel:WORD_1 src1_sel:DWORD
	v_fma_f16 v46, v51, s12, -v46
	v_add_f16_e32 v23, v46, v23
	v_fma_f16 v46, v52, s29, v49
	v_add_f16_e32 v27, v46, v27
	v_mul_f16_sdwa v46, v52, s30 dst_sel:DWORD dst_unused:UNUSED_PAD src0_sel:WORD_1 src1_sel:DWORD
	v_fma_f16 v53, v52, s11, v49
	v_fma_f16 v49, v51, s25, v46
	v_add_f16_e32 v45, v49, v45
	v_mul_f16_sdwa v49, v51, s25 dst_sel:DWORD dst_unused:UNUSED_PAD src0_sel:WORD_1 src1_sel:DWORD
	v_fma_f16 v46, v51, s25, -v46
	v_add_f16_e32 v41, v46, v41
	v_fma_f16 v46, v52, s30, v49
	v_add_f16_e32 v44, v46, v44
	v_fma_f16 v46, v55, s22, -v57
	v_add_f16_e32 v11, v46, v11
	v_fma_f16 v46, v56, s18, v58
	v_add_f16_e32 v19, v46, v19
	;; [unrolled: 4-line block ×3, first 2 shown]
	v_mul_f16_sdwa v46, v56, s30 dst_sel:DWORD dst_unused:UNUSED_PAD src0_sel:WORD_1 src1_sel:DWORD
	v_add_f16_e32 v43, v53, v43
	v_fma_f16 v53, v52, s23, v49
	v_fma_f16 v49, v55, s25, v46
	v_add_f16_sdwa v77, v36, v77 dst_sel:DWORD dst_unused:UNUSED_PAD src0_sel:WORD_1 src1_sel:DWORD
	v_fma_f16 v79, v39, s29, v78
	v_add_f16_e32 v25, v49, v25
	v_mul_f16_sdwa v49, v55, s25 dst_sel:DWORD dst_unused:UNUSED_PAD src0_sel:WORD_1 src1_sel:DWORD
	v_fma_f16 v46, v55, s25, -v46
	v_add_f16_e32 v9, v36, v9
	v_add_f16_e32 v77, v79, v77
	;; [unrolled: 1-line block ×3, first 2 shown]
	v_fma_f16 v46, v56, s30, v49
	v_add_f16_e32 v9, v13, v9
	v_add_f16_sdwa v7, v36, v7 dst_sel:DWORD dst_unused:UNUSED_PAD src0_sel:WORD_1 src1_sel:WORD_1
	v_fma_f16 v13, v61, s22, -v74
	v_add_f16_e32 v50, v50, v77
	v_add_f16_e32 v27, v46, v27
	v_mul_f16_sdwa v46, v56, s10 dst_sel:DWORD dst_unused:UNUSED_PAD src0_sel:WORD_1 src1_sel:DWORD
	v_add_f16_sdwa v7, v15, v7 dst_sel:DWORD dst_unused:UNUSED_PAD src0_sel:WORD_1 src1_sel:DWORD
	v_add_f16_e32 v13, v13, v17
	v_fma_f16 v15, v59, s18, v75
	v_mul_f16_sdwa v17, v59, s20 dst_sel:DWORD dst_unused:UNUSED_PAD src0_sel:WORD_1 src1_sel:DWORD
	v_add_f16_e32 v50, v53, v50
	v_fma_f16 v53, v56, s23, v49
	v_fma_f16 v49, v55, s13, v46
	v_add_f16_e32 v15, v15, v21
	v_fma_f16 v21, v61, s15, v17
	v_add_f16_e32 v45, v49, v45
	v_mul_f16_sdwa v49, v55, s13 dst_sel:DWORD dst_unused:UNUSED_PAD src0_sel:WORD_1 src1_sel:DWORD
	v_add_f16_e32 v21, v21, v25
	v_mul_f16_sdwa v25, v61, s15 dst_sel:DWORD dst_unused:UNUSED_PAD src0_sel:WORD_1 src1_sel:DWORD
	v_fma_f16 v17, v61, s15, -v17
	v_add_f16_e32 v43, v53, v43
	v_fma_f16 v53, v56, s27, v49
	v_add_f16_e32 v9, v29, v9
	v_add_f16_sdwa v7, v42, v7 dst_sel:DWORD dst_unused:UNUSED_PAD src0_sel:WORD_1 src1_sel:DWORD
	v_fma_f16 v29, v59, s24, v25
	v_add_f16_e32 v17, v17, v23
	v_fma_f16 v23, v59, s20, v25
	v_mul_f16_sdwa v25, v59, s14 dst_sel:DWORD dst_unused:UNUSED_PAD src0_sel:WORD_1 src1_sel:DWORD
	v_mul_f16_sdwa v42, v61, s19 dst_sel:DWORD dst_unused:UNUSED_PAD src0_sel:WORD_1 src1_sel:DWORD
	v_add_f16_e32 v50, v53, v50
	v_add_f16_e32 v29, v29, v43
	;; [unrolled: 1-line block ×3, first 2 shown]
	v_fma_f16 v27, v61, s19, v25
	v_fma_f16 v43, v59, s28, v42
	v_add_f16_e32 v27, v27, v45
	v_add_f16_e32 v43, v43, v50
	v_pack_b32_f16 v27, v27, v43
	v_pack_b32_f16 v21, v21, v29
	ds_write2_b32 v63, v21, v27 offset0:4 offset1:5
	v_pk_mul_f16 v21, v38, s25 op_sel_hi:[1,0]
	v_fma_f16 v46, v55, s13, -v46
	v_pk_fma_f16 v27, v37, s23, v21 op_sel:[0,0,1] op_sel_hi:[1,0,0]
	v_pk_fma_f16 v21, v37, s23, v21 op_sel:[0,0,1] op_sel_hi:[1,0,0] neg_lo:[1,0,0] neg_hi:[1,0,0]
	v_alignbit_b32 v29, s0, v27, 16
	v_pk_add_f16 v29, v36, v29
	v_pk_add_f16 v21, v36, v21 op_sel:[1,0] op_sel_hi:[0,1]
	v_alignbit_b32 v36, s0, v36, 16
	v_pk_add_f16 v27, v36, v27
	v_pk_mul_f16 v36, v40, s13 op_sel_hi:[1,0]
	v_add_f16_e32 v41, v46, v41
	v_pk_fma_f16 v37, v39, s10, v36 op_sel:[0,0,1] op_sel_hi:[1,0,0]
	v_pk_fma_f16 v36, v39, s10, v36 op_sel:[0,0,1] op_sel_hi:[1,0,0] neg_lo:[1,0,0] neg_hi:[1,0,0]
	v_alignbit_b32 v38, s0, v37, 16
	v_pk_add_f16 v21, v36, v21
	v_pk_mul_f16 v36, v47, s22 op_sel_hi:[1,0]
	v_pk_add_f16 v27, v37, v27
	v_pk_fma_f16 v37, v48, s18, v36 op_sel:[0,0,1] op_sel_hi:[1,0,0]
	v_pk_fma_f16 v36, v48, s18, v36 op_sel:[0,0,1] op_sel_hi:[1,0,0] neg_lo:[1,0,0] neg_hi:[1,0,0]
	v_pk_add_f16 v29, v38, v29
	v_pk_add_f16 v21, v36, v21
	v_pk_mul_f16 v36, v51, s15 op_sel_hi:[1,0]
	v_alignbit_b32 v38, s0, v37, 16
	v_pk_add_f16 v27, v37, v27
	v_pk_fma_f16 v37, v52, s20, v36 op_sel:[0,0,1] op_sel_hi:[1,0,0]
	v_pk_fma_f16 v36, v52, s20, v36 op_sel:[0,0,1] op_sel_hi:[1,0,0] neg_lo:[1,0,0] neg_hi:[1,0,0]
	v_pk_add_f16 v29, v38, v29
	v_pk_add_f16 v21, v36, v21
	v_pk_mul_f16 v36, v55, s19 op_sel_hi:[1,0]
	v_alignbit_b32 v38, s0, v37, 16
	v_pk_add_f16 v27, v37, v27
	v_pk_fma_f16 v37, v56, s14, v36 op_sel:[0,0,1] op_sel_hi:[1,0,0]
	v_pk_fma_f16 v36, v56, s14, v36 op_sel:[0,0,1] op_sel_hi:[1,0,0] neg_lo:[1,0,0] neg_hi:[1,0,0]
	v_fma_f16 v46, v56, s10, v49
	v_pk_add_f16 v21, v36, v21
	v_pk_mul_f16 v36, v61, s12 op_sel_hi:[1,0]
	v_add_f16_e32 v9, v64, v9
	v_add_f16_sdwa v7, v65, v7 dst_sel:DWORD dst_unused:UNUSED_PAD src0_sel:WORD_1 src1_sel:DWORD
	v_pk_add_f16 v29, v38, v29
	v_alignbit_b32 v38, s0, v37, 16
	v_pk_add_f16 v27, v37, v27
	v_pk_fma_f16 v37, v59, s11, v36 op_sel:[0,0,1] op_sel_hi:[1,0,0]
	v_add_f16_e32 v44, v46, v44
	v_pk_mul_f16 v46, v61, s25 op_sel_hi:[1,0]
	v_add_f16_e32 v9, v68, v9
	v_add_f16_sdwa v7, v69, v7 dst_sel:DWORD dst_unused:UNUSED_PAD src0_sel:WORD_1 src1_sel:DWORD
	v_fma_f16 v25, v61, s19, -v25
	v_pk_add_f16 v29, v38, v29
	v_alignbit_b32 v38, s0, v37, 16
	v_pk_fma_f16 v36, v59, s11, v36 op_sel:[0,0,1] op_sel_hi:[1,0,0] neg_lo:[1,0,0] neg_hi:[1,0,0]
	v_sub_f16_sdwa v49, v46, v60 dst_sel:DWORD dst_unused:UNUSED_PAD src0_sel:DWORD src1_sel:WORD_1
	v_add_f16_sdwa v46, v60, v46 dst_sel:DWORD dst_unused:UNUSED_PAD src0_sel:DWORD src1_sel:WORD_1
	v_add_f16_e32 v9, v72, v9
	v_add_f16_sdwa v7, v73, v7 dst_sel:DWORD dst_unused:UNUSED_PAD src0_sel:WORD_1 src1_sel:DWORD
	v_add_f16_e32 v25, v25, v41
	v_fma_f16 v41, v59, s14, v42
	v_pk_add_f16 v29, v38, v29
	v_pk_add_f16 v21, v36, v21
	;; [unrolled: 1-line block ×3, first 2 shown]
	v_add_f16_e32 v11, v49, v11
	v_add_f16_e32 v19, v46, v19
	;; [unrolled: 1-line block ×3, first 2 shown]
	v_alignbit_b32 v27, v27, v21, 16
	v_pack_b32_f16 v21, v29, v21
	v_pack_b32_f16 v7, v9, v7
	;; [unrolled: 1-line block ×3, first 2 shown]
	ds_write2_b32 v63, v21, v27 offset0:6 offset1:7
	v_pack_b32_f16 v17, v17, v23
	v_pack_b32_f16 v21, v25, v41
	ds_write2_b32 v63, v9, v7 offset0:10 offset1:11
	v_pack_b32_f16 v7, v11, v19
	v_cmp_gt_u32_e64 s[0:1], 2, v30
	ds_write2_b32 v63, v21, v17 offset0:8 offset1:9
	ds_write_b32 v63, v7 offset:48
	s_and_saveexec_b64 s[4:5], s[0:1]
	s_cbranch_execz .LBB0_15
; %bb.14:
	v_pk_add_f16 v7, v1, v18
	v_pk_add_f16 v9, v18, v1 neg_lo:[0,1] neg_hi:[0,1]
	v_pk_add_f16 v11, v8, v20
	v_mul_f16_sdwa v29, v7, s22 dst_sel:DWORD dst_unused:UNUSED_PAD src0_sel:WORD_1 src1_sel:DWORD
	v_pk_add_f16 v13, v20, v8 neg_lo:[0,1] neg_hi:[0,1]
	v_fma_f16 v36, v9, s26, v29
	v_mul_f16_sdwa v37, v11, s12 dst_sel:DWORD dst_unused:UNUSED_PAD src0_sel:WORD_1 src1_sel:DWORD
	v_pk_add_f16 v15, v10, v22
	v_add_f16_sdwa v36, v6, v36 dst_sel:DWORD dst_unused:UNUSED_PAD src0_sel:WORD_1 src1_sel:DWORD
	v_fma_f16 v38, v13, s29, v37
	v_pk_add_f16 v17, v22, v10 neg_lo:[0,1] neg_hi:[0,1]
	v_add_f16_e32 v36, v38, v36
	v_mul_f16_sdwa v38, v15, s15 dst_sel:DWORD dst_unused:UNUSED_PAD src0_sel:WORD_1 src1_sel:DWORD
	v_pk_add_f16 v19, v16, v24
	v_fma_f16 v39, v17, s20, v38
	v_pk_add_f16 v21, v24, v16 neg_lo:[0,1] neg_hi:[0,1]
	v_add_f16_e32 v36, v39, v36
	v_mul_f16_sdwa v39, v19, s25 dst_sel:DWORD dst_unused:UNUSED_PAD src0_sel:WORD_1 src1_sel:DWORD
	v_pk_add_f16 v23, v28, v26
	;; [unrolled: 5-line block ×3, first 2 shown]
	v_fma_f16 v41, v25, s27, v40
	v_pk_add_f16 v18, v18, v20
	v_fma_f16 v20, v9, s18, v29
	v_add_f16_e32 v36, v41, v36
	v_mul_f16_sdwa v41, v9, s18 dst_sel:DWORD dst_unused:UNUSED_PAD src0_sel:WORD_1 src1_sel:DWORD
	v_pk_add_f16 v18, v18, v22
	v_add_f16_sdwa v20, v6, v20 dst_sel:DWORD dst_unused:UNUSED_PAD src0_sel:WORD_1 src1_sel:DWORD
	v_fma_f16 v22, v13, s11, v37
	v_fma_f16 v42, v7, s22, v41
	v_mul_f16_sdwa v43, v13, s11 dst_sel:DWORD dst_unused:UNUSED_PAD src0_sel:WORD_1 src1_sel:DWORD
	v_mul_f16_sdwa v48, v7, s19 dst_sel:DWORD dst_unused:UNUSED_PAD src0_sel:WORD_1 src1_sel:DWORD
	v_add_f16_e32 v20, v22, v20
	v_fma_f16 v22, v17, s24, v38
	v_add_f16_e32 v42, v6, v42
	v_fma_f16 v44, v11, s12, v43
	v_fma_f16 v49, v9, s28, v48
	v_mul_f16_sdwa v50, v11, s22 dst_sel:DWORD dst_unused:UNUSED_PAD src0_sel:WORD_1 src1_sel:DWORD
	v_add_f16_e32 v20, v22, v20
	v_fma_f16 v22, v21, s30, v39
	v_add_f16_e32 v42, v44, v42
	v_mul_f16_sdwa v44, v17, s24 dst_sel:DWORD dst_unused:UNUSED_PAD src0_sel:WORD_1 src1_sel:DWORD
	v_add_f16_sdwa v49, v6, v49 dst_sel:DWORD dst_unused:UNUSED_PAD src0_sel:WORD_1 src1_sel:DWORD
	v_fma_f16 v51, v13, s18, v50
	v_add_f16_e32 v20, v22, v20
	v_fma_f16 v22, v25, s10, v40
	v_fma_f16 v45, v15, s15, v44
	v_add_f16_e32 v49, v51, v49
	v_mul_f16_sdwa v51, v15, s13 dst_sel:DWORD dst_unused:UNUSED_PAD src0_sel:WORD_1 src1_sel:DWORD
	v_add_f16_e32 v20, v22, v20
	v_fma_f16 v22, v7, s22, -v41
	v_add_f16_e32 v42, v45, v42
	v_mul_f16_sdwa v45, v21, s30 dst_sel:DWORD dst_unused:UNUSED_PAD src0_sel:WORD_1 src1_sel:DWORD
	v_fma_f16 v52, v17, s27, v51
	v_pk_add_f16 v18, v18, v24
	v_add_f16_e32 v22, v6, v22
	v_fma_f16 v24, v11, s12, -v43
	v_fma_f16 v46, v19, s25, v45
	v_add_f16_e32 v49, v52, v49
	v_mul_f16_sdwa v52, v19, s12 dst_sel:DWORD dst_unused:UNUSED_PAD src0_sel:WORD_1 src1_sel:DWORD
	v_add_f16_e32 v22, v24, v22
	v_fma_f16 v24, v15, s15, -v44
	v_add_f16_e32 v42, v46, v42
	v_mul_f16_sdwa v46, v25, s10 dst_sel:DWORD dst_unused:UNUSED_PAD src0_sel:WORD_1 src1_sel:DWORD
	v_fma_f16 v53, v21, s11, v52
	v_add_f16_e32 v22, v24, v22
	v_fma_f16 v24, v19, s25, -v45
	v_add_f16_e32 v49, v53, v49
	v_mul_f16_sdwa v53, v23, s25 dst_sel:DWORD dst_unused:UNUSED_PAD src0_sel:WORD_1 src1_sel:DWORD
	v_add_f16_e32 v22, v24, v22
	v_fma_f16 v24, v23, s13, -v46
	v_fma_f16 v54, v25, s23, v53
	v_add_f16_e32 v22, v24, v22
	v_fma_f16 v24, v9, s14, v48
	v_add_f16_e32 v49, v54, v49
	v_mul_f16_sdwa v54, v9, s14 dst_sel:DWORD dst_unused:UNUSED_PAD src0_sel:WORD_1 src1_sel:DWORD
	v_pk_add_f16 v18, v18, v26
	v_add_f16_sdwa v24, v6, v24 dst_sel:DWORD dst_unused:UNUSED_PAD src0_sel:WORD_1 src1_sel:DWORD
	v_fma_f16 v26, v13, s26, v50
	v_fma_f16 v55, v7, s19, v54
	v_mul_f16_sdwa v56, v13, s26 dst_sel:DWORD dst_unused:UNUSED_PAD src0_sel:WORD_1 src1_sel:DWORD
	v_mul_f16_sdwa v61, v7, s12 dst_sel:DWORD dst_unused:UNUSED_PAD src0_sel:WORD_1 src1_sel:DWORD
	v_add_f16_e32 v24, v26, v24
	v_fma_f16 v26, v17, s10, v51
	v_add_f16_e32 v55, v6, v55
	v_fma_f16 v57, v11, s22, v56
	v_fma_f16 v62, v9, s11, v61
	v_mul_f16_sdwa v63, v11, s25 dst_sel:DWORD dst_unused:UNUSED_PAD src0_sel:WORD_1 src1_sel:DWORD
	v_add_f16_e32 v24, v26, v24
	v_fma_f16 v26, v21, s29, v52
	v_add_f16_e32 v55, v57, v55
	v_mul_f16_sdwa v57, v17, s10 dst_sel:DWORD dst_unused:UNUSED_PAD src0_sel:WORD_1 src1_sel:DWORD
	v_add_f16_sdwa v62, v6, v62 dst_sel:DWORD dst_unused:UNUSED_PAD src0_sel:WORD_1 src1_sel:DWORD
	v_fma_f16 v64, v13, s30, v63
	v_pk_add_f16 v18, v18, v12
	v_add_f16_e32 v24, v26, v24
	v_fma_f16 v26, v25, s30, v53
	v_fma_f16 v58, v15, s13, v57
	v_add_f16_e32 v62, v64, v62
	v_mul_f16_sdwa v64, v15, s19 dst_sel:DWORD dst_unused:UNUSED_PAD src0_sel:WORD_1 src1_sel:DWORD
	v_pk_add_f16 v18, v18, v14
	v_add_f16_e32 v24, v26, v24
	v_fma_f16 v26, v7, s19, -v54
	v_add_f16_e32 v55, v58, v55
	v_mul_f16_sdwa v58, v21, s29 dst_sel:DWORD dst_unused:UNUSED_PAD src0_sel:WORD_1 src1_sel:DWORD
	v_fma_f16 v65, v17, s14, v64
	v_pk_add_f16 v18, v18, v28
	v_add_f16_e32 v26, v6, v26
	v_fma_f16 v28, v11, s22, -v56
	v_fma_f16 v59, v19, s12, v58
	v_add_f16_e32 v62, v65, v62
	v_mul_f16_sdwa v65, v19, s13 dst_sel:DWORD dst_unused:UNUSED_PAD src0_sel:WORD_1 src1_sel:DWORD
	v_add_f16_e32 v26, v28, v26
	v_fma_f16 v28, v15, s13, -v57
	v_add_f16_e32 v55, v59, v55
	v_mul_f16_sdwa v59, v25, s30 dst_sel:DWORD dst_unused:UNUSED_PAD src0_sel:WORD_1 src1_sel:DWORD
	v_fma_f16 v66, v21, s27, v65
	v_add_f16_e32 v26, v28, v26
	v_fma_f16 v28, v19, s12, -v58
	v_add_f16_e32 v62, v66, v62
	v_mul_f16_sdwa v66, v23, s15 dst_sel:DWORD dst_unused:UNUSED_PAD src0_sel:WORD_1 src1_sel:DWORD
	v_add_f16_e32 v26, v28, v26
	v_fma_f16 v28, v23, s25, -v59
	v_fma_f16 v67, v25, s20, v66
	v_mul_f16_sdwa v74, v7, s13 dst_sel:DWORD dst_unused:UNUSED_PAD src0_sel:WORD_1 src1_sel:DWORD
	v_add_f16_e32 v26, v28, v26
	v_fma_f16 v28, v9, s29, v61
	v_add_f16_e32 v62, v67, v62
	v_mul_f16_sdwa v67, v9, s29 dst_sel:DWORD dst_unused:UNUSED_PAD src0_sel:WORD_1 src1_sel:DWORD
	v_fma_f16 v75, v9, s10, v74
	v_mul_f16_sdwa v76, v11, s15 dst_sel:DWORD dst_unused:UNUSED_PAD src0_sel:WORD_1 src1_sel:DWORD
	v_add_f16_sdwa v28, v6, v28 dst_sel:DWORD dst_unused:UNUSED_PAD src0_sel:WORD_1 src1_sel:DWORD
	v_fma_f16 v29, v13, s23, v63
	v_fma_f16 v68, v7, s12, v67
	v_mul_f16_sdwa v69, v13, s23 dst_sel:DWORD dst_unused:UNUSED_PAD src0_sel:WORD_1 src1_sel:DWORD
	v_add_f16_sdwa v75, v6, v75 dst_sel:DWORD dst_unused:UNUSED_PAD src0_sel:WORD_1 src1_sel:DWORD
	v_fma_f16 v77, v13, s20, v76
	v_add_f16_e32 v28, v29, v28
	v_fma_f16 v29, v17, s28, v64
	v_add_f16_e32 v68, v6, v68
	;; [unrolled: 2-line block ×3, first 2 shown]
	v_mul_f16_sdwa v77, v15, s12 dst_sel:DWORD dst_unused:UNUSED_PAD src0_sel:WORD_1 src1_sel:DWORD
	v_add_f16_e32 v28, v29, v28
	v_fma_f16 v29, v21, s10, v65
	v_add_f16_e32 v68, v70, v68
	v_mul_f16_sdwa v70, v17, s28 dst_sel:DWORD dst_unused:UNUSED_PAD src0_sel:WORD_1 src1_sel:DWORD
	v_fma_f16 v78, v17, s11, v77
	v_add_f16_e32 v28, v29, v28
	v_fma_f16 v29, v25, s24, v66
	v_fma_f16 v71, v15, s19, v70
	v_add_f16_e32 v75, v78, v75
	v_mul_f16_sdwa v78, v19, s19 dst_sel:DWORD dst_unused:UNUSED_PAD src0_sel:WORD_1 src1_sel:DWORD
	v_add_f16_e32 v28, v29, v28
	v_fma_f16 v29, v7, s12, -v67
	v_add_f16_e32 v68, v71, v68
	v_mul_f16_sdwa v71, v21, s10 dst_sel:DWORD dst_unused:UNUSED_PAD src0_sel:WORD_1 src1_sel:DWORD
	v_fma_f16 v79, v21, s28, v78
	v_add_f16_e32 v29, v6, v29
	v_fma_f16 v37, v11, s25, -v69
	v_fma_f16 v72, v19, s13, v71
	v_add_f16_e32 v75, v79, v75
	v_mul_f16_sdwa v79, v23, s22 dst_sel:DWORD dst_unused:UNUSED_PAD src0_sel:WORD_1 src1_sel:DWORD
	v_add_f16_e32 v29, v37, v29
	v_fma_f16 v37, v15, s19, -v70
	v_add_f16_e32 v68, v72, v68
	v_mul_f16_sdwa v72, v25, s24 dst_sel:DWORD dst_unused:UNUSED_PAD src0_sel:WORD_1 src1_sel:DWORD
	v_fma_f16 v80, v25, s26, v79
	v_add_f16_e32 v29, v37, v29
	v_fma_f16 v37, v19, s13, -v71
	v_add_f16_e32 v75, v80, v75
	v_mul_f16_sdwa v80, v9, s27 dst_sel:DWORD dst_unused:UNUSED_PAD src0_sel:WORD_1 src1_sel:DWORD
	v_add_f16_e32 v29, v37, v29
	v_fma_f16 v37, v23, s15, -v72
	v_fma_f16 v81, v7, s13, v80
	v_mul_f16_sdwa v82, v13, s24 dst_sel:DWORD dst_unused:UNUSED_PAD src0_sel:WORD_1 src1_sel:DWORD
	v_add_f16_e32 v29, v37, v29
	v_fma_f16 v37, v9, s27, v74
	v_add_f16_e32 v81, v6, v81
	v_fma_f16 v83, v11, s15, v82
	v_add_f16_sdwa v37, v6, v37 dst_sel:DWORD dst_unused:UNUSED_PAD src0_sel:WORD_1 src1_sel:DWORD
	v_fma_f16 v38, v13, s24, v76
	v_add_f16_e32 v81, v83, v81
	v_mul_f16_sdwa v83, v17, s29 dst_sel:DWORD dst_unused:UNUSED_PAD src0_sel:WORD_1 src1_sel:DWORD
	v_add_f16_e32 v37, v38, v37
	v_fma_f16 v38, v17, s29, v77
	v_fma_f16 v84, v15, s12, v83
	v_add_f16_e32 v37, v38, v37
	v_fma_f16 v38, v21, s14, v78
	v_add_f16_e32 v81, v84, v81
	v_mul_f16_sdwa v84, v21, s14 dst_sel:DWORD dst_unused:UNUSED_PAD src0_sel:WORD_1 src1_sel:DWORD
	v_add_f16_e32 v37, v38, v37
	v_fma_f16 v38, v25, s18, v79
	v_fma_f16 v85, v19, s19, v84
	v_add_f16_e32 v37, v38, v37
	v_fma_f16 v38, v7, s13, -v80
	v_add_f16_e32 v81, v85, v81
	v_mul_f16_sdwa v85, v25, s18 dst_sel:DWORD dst_unused:UNUSED_PAD src0_sel:WORD_1 src1_sel:DWORD
	v_add_f16_e32 v38, v6, v38
	v_fma_f16 v39, v11, s15, -v82
	v_pk_add_f16 v16, v18, v16
	v_pk_add_f16 v27, v12, v14 neg_lo:[0,1] neg_hi:[0,1]
	v_fma_f16 v86, v23, s22, v85
	v_add_f16_e32 v38, v39, v38
	v_fma_f16 v39, v15, s12, -v83
	v_pk_add_f16 v12, v14, v12
	v_pk_add_f16 v10, v16, v10
	v_add_f16_e32 v81, v86, v81
	v_pk_mul_f16 v86, v27, s23 op_sel_hi:[1,0]
	v_add_f16_e32 v38, v39, v38
	v_fma_f16 v39, v19, s19, -v84
	v_mul_f16_sdwa v14, v12, s19 dst_sel:DWORD dst_unused:UNUSED_PAD src0_sel:WORD_1 src1_sel:DWORD
	v_pk_add_f16 v8, v10, v8
	v_fma_f16 v47, v23, s13, v46
	v_add_f16_e32 v38, v39, v38
	v_fma_f16 v39, v23, s22, -v85
	v_mul_f16_sdwa v40, v12, s15 dst_sel:DWORD dst_unused:UNUSED_PAD src0_sel:WORD_1 src1_sel:DWORD
	v_pk_fma_f16 v46, v12, s25, v86 op_sel:[0,0,1] op_sel_hi:[1,0,0]
	v_pk_fma_f16 v10, v12, s25, v86 op_sel:[0,0,1] op_sel_hi:[1,0,0] neg_lo:[0,0,1] neg_hi:[0,0,1]
	v_pk_add_f16 v1, v8, v1
	v_fma_f16 v8, v27, s14, v14
	v_add_f16_e32 v42, v47, v42
	v_mul_f16_sdwa v47, v27, s14 dst_sel:DWORD dst_unused:UNUSED_PAD src0_sel:WORD_1 src1_sel:DWORD
	v_fma_f16 v60, v23, s25, v59
	v_add_f16_e32 v38, v39, v38
	v_mul_i32_i24_e32 v39, 52, v33
	v_mul_f16_sdwa v43, v12, s22 dst_sel:DWORD dst_unused:UNUSED_PAD src0_sel:WORD_1 src1_sel:DWORD
	v_bfi_b32 v10, s21, v46, v10
	v_pack_b32_f16 v46, v81, v75
	v_add_f16_e32 v8, v8, v20
	v_fma_f16 v20, v27, s20, v40
	v_add_f16_e32 v55, v60, v55
	v_mul_f16_sdwa v60, v27, s20 dst_sel:DWORD dst_unused:UNUSED_PAD src0_sel:WORD_1 src1_sel:DWORD
	v_fma_f16 v73, v23, s15, v72
	v_add3_u32 v39, 0, v39, v34
	v_fma_f16 v18, v27, s28, v14
	v_pk_mul_f16 v16, v12, s25 op_sel_hi:[1,0]
	v_pk_add_f16 v10, v10, v46
	v_fma_f16 v14, v12, s19, -v47
	v_add_f16_e32 v20, v20, v24
	v_fma_f16 v24, v27, s18, v43
	v_add_f16_e32 v68, v73, v68
	v_mul_f16_sdwa v73, v27, s18 dst_sel:DWORD dst_unused:UNUSED_PAD src0_sel:WORD_1 src1_sel:DWORD
	v_add_f16_e32 v14, v14, v22
	v_fma_f16 v22, v12, s15, -v60
	v_add_f16_e32 v24, v24, v28
	v_add_f16_sdwa v28, v86, v16 dst_sel:DWORD dst_unused:UNUSED_PAD src0_sel:DWORD src1_sel:WORD_1
	ds_write2_b32 v39, v1, v10 offset1:1
	v_pk_mul_f16 v1, v9, s24 op_sel_hi:[1,0]
	v_add_f16_e32 v22, v22, v26
	v_fma_f16 v26, v12, s22, -v73
	v_add_f16_e32 v28, v28, v37
	v_sub_f16_sdwa v16, v16, v86 dst_sel:DWORD dst_unused:UNUSED_PAD src0_sel:DWORD src1_sel:WORD_1
	v_pk_fma_f16 v10, v7, s15, v1 op_sel:[0,0,1] op_sel_hi:[1,0,0]
	v_pk_fma_f16 v1, v7, s15, v1 op_sel:[0,0,1] op_sel_hi:[1,0,0] neg_lo:[0,0,1] neg_hi:[0,0,1]
	v_pk_mul_f16 v37, v13, s14 op_sel_hi:[1,0]
	v_add_f16_e32 v26, v26, v29
	v_add_f16_e32 v16, v16, v38
	v_bfi_b32 v29, s21, v10, v1
	v_pk_fma_f16 v38, v11, s19, v37 op_sel:[0,0,1] op_sel_hi:[1,0,0]
	v_pk_fma_f16 v37, v11, s19, v37 op_sel:[0,0,1] op_sel_hi:[1,0,0] neg_lo:[0,0,1] neg_hi:[0,0,1]
	v_fma_f16 v41, v27, s24, v40
	v_pk_add_f16 v29, v6, v29
	v_bfi_b32 v40, s21, v38, v37
	v_pk_add_f16 v29, v40, v29
	v_pk_mul_f16 v40, v17, s23 op_sel_hi:[1,0]
	v_fma_f16 v44, v27, s26, v43
	v_pk_fma_f16 v43, v15, s25, v40 op_sel:[0,0,1] op_sel_hi:[1,0,0]
	v_pk_fma_f16 v40, v15, s25, v40 op_sel:[0,0,1] op_sel_hi:[1,0,0] neg_lo:[0,0,1] neg_hi:[0,0,1]
	v_add_f16_e32 v18, v18, v36
	v_bfi_b32 v46, s21, v43, v40
	v_pk_add_f16 v29, v46, v29
	v_pk_mul_f16 v46, v21, s26 op_sel_hi:[1,0]
	v_fma_f16 v36, v12, s19, v47
	v_pk_fma_f16 v47, v19, s22, v46 op_sel:[0,0,1] op_sel_hi:[1,0,0]
	v_pk_fma_f16 v46, v19, s22, v46 op_sel:[0,0,1] op_sel_hi:[1,0,0] neg_lo:[0,0,1] neg_hi:[0,0,1]
	v_add_f16_e32 v41, v41, v49
	v_bfi_b32 v48, s21, v47, v46
	v_pk_add_f16 v29, v48, v29
	v_pk_mul_f16 v48, v25, s11 op_sel_hi:[1,0]
	v_fma_f16 v45, v12, s22, v73
	v_pk_fma_f16 v49, v23, s12, v48 op_sel:[0,0,1] op_sel_hi:[1,0,0]
	v_pk_fma_f16 v48, v23, s12, v48 op_sel:[0,0,1] op_sel_hi:[1,0,0] neg_lo:[0,0,1] neg_hi:[0,0,1]
	v_add_f16_e32 v36, v36, v42
	v_bfi_b32 v50, s21, v49, v48
	v_pk_add_f16 v29, v50, v29
	v_pk_mul_f16 v50, v27, s10 op_sel_hi:[1,0]
	v_fma_f16 v42, v12, s15, v60
	v_pk_fma_f16 v51, v12, s13, v50 op_sel:[0,0,1] op_sel_hi:[1,0,0]
	v_pk_fma_f16 v50, v12, s13, v50 op_sel:[0,0,1] op_sel_hi:[1,0,0] neg_lo:[0,0,1] neg_hi:[0,0,1]
	v_add_f16_e32 v44, v44, v62
	v_add_f16_e32 v45, v45, v68
	v_bfi_b32 v52, s21, v51, v50
	v_add_f16_e32 v1, v6, v1
	v_add_f16_e32 v42, v42, v55
	v_pk_add_f16 v29, v52, v29
	v_add_f16_e32 v1, v37, v1
	v_pack_b32_f16 v37, v45, v44
	ds_write2_b32 v39, v29, v37 offset0:2 offset1:3
	v_pack_b32_f16 v18, v36, v18
	v_pack_b32_f16 v29, v42, v41
	v_pk_mul_f16 v7, v7, s25 op_sel_hi:[1,0]
	ds_write2_b32 v39, v29, v18 offset0:4 offset1:5
	v_pk_fma_f16 v18, v9, s23, v7 op_sel:[0,0,1] op_sel_hi:[1,0,0]
	v_pk_mul_f16 v11, v11, s13 op_sel_hi:[1,0]
	v_alignbit_b32 v29, s0, v18, 16
	v_pk_fma_f16 v36, v13, s10, v11 op_sel:[0,0,1] op_sel_hi:[1,0,0]
	v_pk_add_f16 v29, v6, v29
	v_alignbit_b32 v37, s0, v36, 16
	v_pk_mul_f16 v15, v15, s22 op_sel_hi:[1,0]
	v_add_f16_sdwa v10, v6, v10 dst_sel:DWORD dst_unused:UNUSED_PAD src0_sel:WORD_1 src1_sel:WORD_1
	v_pk_add_f16 v29, v37, v29
	v_pk_fma_f16 v37, v17, s18, v15 op_sel:[0,0,1] op_sel_hi:[1,0,0]
	v_add_f16_sdwa v10, v38, v10 dst_sel:DWORD dst_unused:UNUSED_PAD src0_sel:WORD_1 src1_sel:DWORD
	v_alignbit_b32 v38, s0, v37, 16
	v_pk_mul_f16 v19, v19, s15 op_sel_hi:[1,0]
	v_pk_add_f16 v29, v38, v29
	v_pk_fma_f16 v38, v21, s20, v19 op_sel:[0,0,1] op_sel_hi:[1,0,0]
	v_add_f16_e32 v1, v40, v1
	v_alignbit_b32 v40, s0, v38, 16
	v_pk_mul_f16 v23, v23, s19 op_sel_hi:[1,0]
	v_pk_add_f16 v29, v40, v29
	v_pk_fma_f16 v40, v25, s14, v23 op_sel:[0,0,1] op_sel_hi:[1,0,0]
	v_pk_fma_f16 v7, v9, s23, v7 op_sel:[0,0,1] op_sel_hi:[1,0,0] neg_lo:[1,0,0] neg_hi:[1,0,0]
	v_alignbit_b32 v41, s0, v40, 16
	v_pk_add_f16 v29, v41, v29
	v_alignbit_b32 v41, s0, v6, 16
	v_pk_add_f16 v6, v6, v7 op_sel:[1,0] op_sel_hi:[0,1]
	v_pk_fma_f16 v7, v13, s10, v11 op_sel:[0,0,1] op_sel_hi:[1,0,0] neg_lo:[1,0,0] neg_hi:[1,0,0]
	v_pk_add_f16 v18, v41, v18
	v_pk_add_f16 v6, v7, v6
	v_pk_fma_f16 v7, v17, s18, v15 op_sel:[0,0,1] op_sel_hi:[1,0,0] neg_lo:[1,0,0] neg_hi:[1,0,0]
	v_pk_add_f16 v18, v36, v18
	v_pk_add_f16 v6, v7, v6
	;; [unrolled: 3-line block ×4, first 2 shown]
	v_pk_mul_f16 v7, v12, s12 op_sel_hi:[1,0]
	v_add_f16_sdwa v10, v43, v10 dst_sel:DWORD dst_unused:UNUSED_PAD src0_sel:WORD_1 src1_sel:DWORD
	v_pk_fma_f16 v9, v27, s11, v7 op_sel:[0,0,1] op_sel_hi:[1,0,0]
	v_pk_add_f16 v18, v40, v18
	v_alignbit_b32 v11, s0, v9, 16
	v_pk_fma_f16 v7, v27, s11, v7 op_sel:[0,0,1] op_sel_hi:[1,0,0] neg_lo:[1,0,0] neg_hi:[1,0,0]
	v_add_f16_sdwa v10, v47, v10 dst_sel:DWORD dst_unused:UNUSED_PAD src0_sel:WORD_1 src1_sel:DWORD
	v_add_f16_e32 v1, v46, v1
	v_pk_add_f16 v11, v11, v29
	v_pk_add_f16 v9, v9, v18
	;; [unrolled: 1-line block ×3, first 2 shown]
	v_add_f16_sdwa v10, v49, v10 dst_sel:DWORD dst_unused:UNUSED_PAD src0_sel:WORD_1 src1_sel:DWORD
	v_add_f16_e32 v1, v48, v1
	v_alignbit_b32 v7, v9, v6, 16
	v_pack_b32_f16 v6, v11, v6
	v_add_f16_sdwa v10, v51, v10 dst_sel:DWORD dst_unused:UNUSED_PAD src0_sel:WORD_1 src1_sel:DWORD
	v_add_f16_e32 v1, v50, v1
	ds_write2_b32 v39, v6, v7 offset0:6 offset1:7
	v_pack_b32_f16 v6, v22, v20
	v_pack_b32_f16 v7, v14, v8
	ds_write2_b32 v39, v7, v6 offset0:8 offset1:9
	v_pack_b32_f16 v1, v1, v10
	v_pack_b32_f16 v6, v26, v24
	ds_write2_b32 v39, v6, v1 offset0:10 offset1:11
	v_pack_b32_f16 v1, v16, v28
	ds_write_b32 v39, v1 offset:48
.LBB0_15:
	s_or_b64 exec, exec, s[4:5]
	v_mov_b32_e32 v1, 0
	v_lshl_add_u64 v[6:7], v[0:1], 2, s[8:9]
	s_waitcnt lgkmcnt(0)
	; wave barrier
	s_waitcnt lgkmcnt(0)
	global_load_dwordx4 v[8:11], v[6:7], off
	v_add_u32_e32 v7, 26, v30
	s_movk_i32 s0, 0x4f
	v_mul_lo_u16_sdwa v6, v7, s0 dst_sel:DWORD dst_unused:UNUSED_PAD src0_sel:BYTE_0 src1_sel:DWORD
	v_lshrrev_b16_e32 v6, 10, v6
	v_mul_lo_u16_e32 v6, 13, v6
	v_mov_b32_e32 v0, 4
	v_sub_u16_e32 v28, v7, v6
	v_lshlrev_b32_sdwa v0, v0, v28 dst_sel:DWORD dst_unused:UNUSED_PAD src0_sel:DWORD src1_sel:BYTE_0
	global_load_dwordx4 v[12:15], v0, s[8:9]
	ds_read_b32 v0, v35
	ds_read2_b32 v[16:17], v32 offset0:26 offset1:39
	ds_read2_b32 v[18:19], v32 offset0:78 offset1:91
	;; [unrolled: 1-line block ×6, first 2 shown]
	v_lshlrev_b32_e32 v6, 2, v33
	v_add3_u32 v6, 0, v6, v34
	ds_read_b32 v36, v6
	ds_read_b32 v37, v32 offset:728
	s_waitcnt lgkmcnt(3)
	v_lshrrev_b32_e32 v40, 16, v24
	v_lshrrev_b32_e32 v41, 16, v19
	;; [unrolled: 1-line block ×5, first 2 shown]
	s_waitcnt lgkmcnt(2)
	v_lshrrev_b32_e32 v42, 16, v26
	v_lshrrev_b32_e32 v45, 16, v25
	v_lshrrev_b32_e32 v39, 16, v22
	v_lshrrev_b32_e32 v43, 16, v23
	v_lshrrev_b32_e32 v46, 16, v20
	v_lshrrev_b32_e32 v47, 16, v27
	s_mov_b32 s0, 0xbb9c
	s_movk_i32 s5, 0x3b9c
	s_waitcnt lgkmcnt(0)
	v_lshrrev_b32_e32 v51, 16, v37
	s_mov_b32 s1, 0xb8b4
	s_movk_i32 s10, 0x38b4
	s_movk_i32 s4, 0x34f2
	v_lshrrev_b32_e32 v38, 16, v0
	v_mov_b32_e32 v29, 2
	v_lshlrev_b32_sdwa v28, v29, v28 dst_sel:DWORD dst_unused:UNUSED_PAD src0_sel:DWORD src1_sel:BYTE_0
	v_lshrrev_b32_e32 v29, 16, v36
	v_lshrrev_b32_e32 v44, 16, v16
	s_waitcnt lgkmcnt(0)
	; wave barrier
	s_waitcnt vmcnt(1)
	v_mul_f16_sdwa v52, v8, v48 dst_sel:DWORD dst_unused:UNUSED_PAD src0_sel:WORD_1 src1_sel:DWORD
	v_mul_f16_sdwa v53, v8, v17 dst_sel:DWORD dst_unused:UNUSED_PAD src0_sel:WORD_1 src1_sel:DWORD
	v_mul_f16_sdwa v54, v9, v49 dst_sel:DWORD dst_unused:UNUSED_PAD src0_sel:WORD_1 src1_sel:DWORD
	v_mul_f16_sdwa v55, v9, v18 dst_sel:DWORD dst_unused:UNUSED_PAD src0_sel:WORD_1 src1_sel:DWORD
	v_mul_f16_sdwa v56, v10, v50 dst_sel:DWORD dst_unused:UNUSED_PAD src0_sel:WORD_1 src1_sel:DWORD
	v_mul_f16_sdwa v60, v40, v8 dst_sel:DWORD dst_unused:UNUSED_PAD src0_sel:DWORD src1_sel:WORD_1
	v_mul_f16_sdwa v61, v24, v8 dst_sel:DWORD dst_unused:UNUSED_PAD src0_sel:DWORD src1_sel:WORD_1
	;; [unrolled: 1-line block ×4, first 2 shown]
	v_mul_f16_sdwa v57, v10, v21 dst_sel:DWORD dst_unused:UNUSED_PAD src0_sel:WORD_1 src1_sel:DWORD
	v_mul_f16_sdwa v59, v22, v11 dst_sel:DWORD dst_unused:UNUSED_PAD src0_sel:DWORD src1_sel:WORD_1
	v_mul_f16_sdwa v64, v42, v10 dst_sel:DWORD dst_unused:UNUSED_PAD src0_sel:DWORD src1_sel:WORD_1
	;; [unrolled: 1-line block ×3, first 2 shown]
	v_fma_f16 v17, v8, v17, v52
	v_fma_f16 v48, v8, v48, -v53
	v_fma_f16 v18, v9, v18, v54
	v_fma_f16 v49, v9, v49, -v55
	v_fma_f16 v21, v10, v21, v56
	v_fma_f16 v24, v24, v8, v60
	v_fma_f16 v8, v40, v8, -v61
	v_fma_f16 v19, v19, v9, v62
	v_fma_f16 v9, v41, v9, -v63
	s_waitcnt vmcnt(0)
	v_mul_f16_sdwa v40, v45, v12 dst_sel:DWORD dst_unused:UNUSED_PAD src0_sel:DWORD src1_sel:WORD_1
	v_mul_f16_sdwa v41, v25, v12 dst_sel:DWORD dst_unused:UNUSED_PAD src0_sel:DWORD src1_sel:WORD_1
	;; [unrolled: 1-line block ×5, first 2 shown]
	v_fma_f16 v50, v10, v50, -v57
	v_fma_f16 v39, v39, v11, -v59
	v_fma_f16 v26, v26, v10, v64
	v_fma_f16 v10, v42, v10, -v65
	v_mul_f16_sdwa v42, v46, v13 dst_sel:DWORD dst_unused:UNUSED_PAD src0_sel:DWORD src1_sel:WORD_1
	v_fma_f16 v25, v25, v12, v40
	v_fma_f16 v12, v45, v12, -v41
	v_add_f16_e32 v41, v18, v21
	v_fma_f16 v22, v22, v11, v58
	v_fma_f16 v23, v23, v11, v66
	v_fma_f16 v11, v43, v11, -v67
	v_mul_f16_sdwa v43, v20, v13 dst_sel:DWORD dst_unused:UNUSED_PAD src0_sel:DWORD src1_sel:WORD_1
	v_mul_f16_sdwa v52, v47, v14 dst_sel:DWORD dst_unused:UNUSED_PAD src0_sel:DWORD src1_sel:WORD_1
	;; [unrolled: 1-line block ×3, first 2 shown]
	v_fma_f16 v20, v20, v13, v42
	v_fma_f16 v41, v41, -0.5, v0
	v_sub_f16_e32 v42, v48, v39
	v_fma_f16 v13, v46, v13, -v43
	v_fma_f16 v27, v27, v14, v52
	v_fma_f16 v14, v47, v14, -v53
	v_fma_f16 v43, v42, s0, v41
	v_sub_f16_e32 v45, v49, v50
	v_sub_f16_e32 v46, v17, v18
	;; [unrolled: 1-line block ×3, first 2 shown]
	v_fma_f16 v41, v42, s5, v41
	v_mul_f16_sdwa v54, v51, v15 dst_sel:DWORD dst_unused:UNUSED_PAD src0_sel:DWORD src1_sel:WORD_1
	v_fma_f16 v43, v45, s1, v43
	v_add_f16_e32 v46, v46, v47
	v_fma_f16 v41, v45, s10, v41
	v_fma_f16 v40, v37, v15, v54
	v_mul_f16_sdwa v37, v37, v15 dst_sel:DWORD dst_unused:UNUSED_PAD src0_sel:DWORD src1_sel:WORD_1
	v_fma_f16 v43, v46, s4, v43
	v_fma_f16 v41, v46, s4, v41
	v_add_f16_e32 v46, v17, v22
	v_fma_f16 v15, v51, v15, -v37
	v_add_f16_e32 v37, v0, v17
	v_fma_f16 v0, v46, -0.5, v0
	v_add_f16_e32 v37, v37, v18
	v_fma_f16 v46, v45, s5, v0
	v_fma_f16 v0, v45, s0, v0
	v_add_f16_e32 v45, v49, v50
	v_add_f16_e32 v37, v37, v21
	v_sub_f16_e32 v47, v18, v17
	v_sub_f16_e32 v51, v21, v22
	v_fma_f16 v45, v45, -0.5, v38
	v_sub_f16_e32 v17, v17, v22
	v_add_f16_e32 v37, v37, v22
	v_fma_f16 v46, v42, s1, v46
	v_add_f16_e32 v47, v47, v51
	v_fma_f16 v0, v42, s10, v0
	v_fma_f16 v22, v17, s5, v45
	v_sub_f16_e32 v18, v18, v21
	v_fma_f16 v46, v47, s4, v46
	v_fma_f16 v0, v47, s4, v0
	;; [unrolled: 1-line block ×3, first 2 shown]
	v_sub_f16_e32 v22, v48, v49
	v_sub_f16_e32 v47, v39, v50
	v_fma_f16 v45, v17, s0, v45
	v_add_f16_e32 v42, v38, v48
	v_add_f16_e32 v22, v22, v47
	v_fma_f16 v45, v18, s1, v45
	v_add_f16_e32 v42, v42, v49
	v_fma_f16 v21, v22, s4, v21
	v_fma_f16 v22, v22, s4, v45
	v_add_f16_e32 v45, v48, v39
	v_add_f16_e32 v42, v42, v50
	v_fma_f16 v38, v45, -0.5, v38
	v_add_f16_e32 v42, v42, v39
	v_fma_f16 v45, v18, s0, v38
	v_sub_f16_e32 v47, v49, v48
	v_sub_f16_e32 v39, v50, v39
	v_fma_f16 v18, v18, s5, v38
	v_fma_f16 v45, v17, s10, v45
	v_add_f16_e32 v39, v47, v39
	v_fma_f16 v17, v17, s1, v18
	v_add_f16_e32 v38, v19, v26
	v_fma_f16 v45, v39, s4, v45
	v_fma_f16 v17, v39, s4, v17
	v_fma_f16 v38, v38, -0.5, v36
	v_sub_f16_e32 v39, v8, v11
	v_fma_f16 v47, v39, s0, v38
	v_sub_f16_e32 v48, v9, v10
	v_sub_f16_e32 v49, v24, v19
	;; [unrolled: 1-line block ×3, first 2 shown]
	v_fma_f16 v38, v39, s5, v38
	v_fma_f16 v47, v48, s1, v47
	v_add_f16_e32 v49, v49, v50
	v_fma_f16 v38, v48, s10, v38
	v_add_f16_e32 v18, v36, v24
	v_fma_f16 v47, v49, s4, v47
	v_fma_f16 v38, v49, s4, v38
	v_add_f16_e32 v49, v24, v23
	v_add_f16_e32 v18, v18, v19
	v_fma_f16 v36, v49, -0.5, v36
	v_add_f16_e32 v18, v18, v26
	v_fma_f16 v49, v48, s5, v36
	v_sub_f16_e32 v50, v19, v24
	v_sub_f16_e32 v51, v26, v23
	v_fma_f16 v36, v48, s0, v36
	v_add_f16_e32 v48, v9, v10
	v_add_f16_e32 v18, v18, v23
	v_fma_f16 v49, v39, s1, v49
	v_add_f16_e32 v50, v50, v51
	v_fma_f16 v36, v39, s10, v36
	v_fma_f16 v48, v48, -0.5, v29
	v_sub_f16_e32 v23, v24, v23
	v_fma_f16 v49, v50, s4, v49
	v_fma_f16 v36, v50, s4, v36
	;; [unrolled: 1-line block ×3, first 2 shown]
	v_sub_f16_e32 v19, v19, v26
	v_sub_f16_e32 v26, v8, v9
	;; [unrolled: 1-line block ×3, first 2 shown]
	v_fma_f16 v48, v23, s0, v48
	v_add_f16_e32 v39, v29, v8
	v_fma_f16 v24, v19, s10, v24
	v_add_f16_e32 v26, v26, v50
	v_fma_f16 v48, v19, s1, v48
	v_add_f16_e32 v39, v39, v9
	v_fma_f16 v24, v26, s4, v24
	v_fma_f16 v26, v26, s4, v48
	v_add_f16_e32 v48, v8, v11
	v_add_f16_e32 v39, v39, v10
	v_fma_f16 v29, v48, -0.5, v29
	v_add_f16_e32 v39, v39, v11
	v_fma_f16 v48, v19, s0, v29
	v_sub_f16_e32 v8, v9, v8
	v_sub_f16_e32 v9, v10, v11
	v_add_f16_e32 v11, v20, v27
	v_fma_f16 v48, v23, s10, v48
	v_add_f16_e32 v8, v8, v9
	v_fma_f16 v10, v19, s5, v29
	v_fma_f16 v11, v11, -0.5, v16
	v_sub_f16_e32 v19, v12, v15
	v_fma_f16 v9, v8, s4, v48
	v_fma_f16 v10, v23, s1, v10
	v_fma_f16 v23, v19, s0, v11
	v_sub_f16_e32 v29, v13, v14
	v_sub_f16_e32 v48, v25, v20
	;; [unrolled: 1-line block ×3, first 2 shown]
	v_fma_f16 v11, v19, s5, v11
	v_fma_f16 v23, v29, s1, v23
	v_add_f16_e32 v48, v48, v50
	v_fma_f16 v11, v29, s10, v11
	v_fma_f16 v23, v48, s4, v23
	;; [unrolled: 1-line block ×3, first 2 shown]
	v_add_f16_e32 v48, v25, v40
	v_fma_f16 v8, v8, s4, v10
	v_add_f16_e32 v10, v16, v25
	v_fma_f16 v16, v48, -0.5, v16
	v_add_f16_e32 v10, v10, v20
	v_fma_f16 v48, v29, s5, v16
	v_fma_f16 v16, v29, s0, v16
	v_add_f16_e32 v29, v13, v14
	v_add_f16_e32 v10, v10, v27
	v_sub_f16_e32 v50, v20, v25
	v_sub_f16_e32 v51, v27, v40
	v_fma_f16 v29, v29, -0.5, v44
	v_sub_f16_e32 v25, v25, v40
	v_add_f16_e32 v10, v10, v40
	v_fma_f16 v48, v19, s1, v48
	v_add_f16_e32 v50, v50, v51
	v_fma_f16 v16, v19, s10, v16
	v_fma_f16 v40, v25, s5, v29
	v_sub_f16_e32 v20, v20, v27
	v_fma_f16 v48, v50, s4, v48
	v_fma_f16 v16, v50, s4, v16
	;; [unrolled: 1-line block ×3, first 2 shown]
	v_sub_f16_e32 v40, v12, v13
	v_sub_f16_e32 v50, v15, v14
	v_fma_f16 v29, v25, s0, v29
	v_add_f16_e32 v40, v40, v50
	v_fma_f16 v29, v20, s1, v29
	v_add_f16_e32 v19, v44, v12
	v_fma_f16 v27, v40, s4, v27
	v_fma_f16 v29, v40, s4, v29
	v_add_f16_e32 v40, v12, v15
	v_add_f16_e32 v19, v19, v13
	v_fma_f16 v40, v40, -0.5, v44
	v_add_f16_e32 v19, v19, v14
	v_fma_f16 v44, v20, s0, v40
	v_sub_f16_e32 v12, v13, v12
	v_sub_f16_e32 v13, v14, v15
	v_fma_f16 v14, v20, s5, v40
	v_fma_f16 v44, v25, s10, v44
	v_add_f16_e32 v12, v12, v13
	v_fma_f16 v14, v25, s1, v14
	v_add_f16_e32 v19, v19, v15
	v_fma_f16 v13, v12, s4, v44
	v_fma_f16 v12, v12, s4, v14
	v_pack_b32_f16 v14, v37, v42
	v_pack_b32_f16 v15, v43, v21
	ds_write2_b32 v32, v14, v15 offset1:13
	v_pack_b32_f16 v14, v46, v45
	v_pack_b32_f16 v0, v0, v17
	ds_write2_b32 v32, v14, v0 offset0:26 offset1:39
	v_pack_b32_f16 v0, v41, v22
	v_pack_b32_f16 v14, v18, v39
	ds_write2_b32 v32, v0, v14 offset0:52 offset1:65
	;; [unrolled: 3-line block ×4, first 2 shown]
	v_add3_u32 v0, 0, v28, v34
	v_pack_b32_f16 v8, v10, v19
	v_pack_b32_f16 v9, v23, v27
	ds_write2_b32 v0, v8, v9 offset0:130 offset1:143
	v_pack_b32_f16 v8, v48, v13
	v_pack_b32_f16 v9, v16, v12
	ds_write2_b32 v0, v8, v9 offset0:156 offset1:169
	v_pack_b32_f16 v8, v11, v29
	ds_write_b32 v0, v8 offset:728
	v_lshlrev_b32_e32 v0, 1, v30
	v_lshl_add_u64 v[8:9], v[0:1], 2, s[8:9]
	s_waitcnt lgkmcnt(0)
	; wave barrier
	s_waitcnt lgkmcnt(0)
	global_load_dwordx2 v[8:9], v[8:9], off offset:208
	v_lshlrev_b32_e32 v10, 1, v33
	v_mov_b32_e32 v11, v1
	v_lshl_add_u64 v[10:11], v[10:11], 2, s[8:9]
	global_load_dwordx2 v[10:11], v[10:11], off offset:208
	v_lshlrev_b32_e32 v12, 1, v7
	v_mov_b32_e32 v13, v1
	v_lshl_add_u64 v[12:13], v[12:13], 2, s[8:9]
	global_load_dwordx2 v[12:13], v[12:13], off offset:208
	v_add_u32_e32 v14, 0x4e, v0
	v_mov_b32_e32 v15, v1
	v_lshl_add_u64 v[14:15], v[14:15], 2, s[8:9]
	global_load_dwordx2 v[14:15], v[14:15], off offset:208
	v_add_u32_e32 v0, 0x68, v0
	v_lshl_add_u64 v[0:1], v[0:1], 2, s[8:9]
	global_load_dwordx2 v[0:1], v[0:1], off offset:208
	ds_read_b32 v7, v35
	ds_read_u16 v28, v32 offset:366
	ds_read_b32 v29, v6
	ds_read_b32 v33, v32 offset:728
	ds_read2_b32 v[16:17], v32 offset0:52 offset1:65
	ds_read2_b32 v[18:19], v32 offset0:130 offset1:143
	;; [unrolled: 1-line block ×6, first 2 shown]
	s_waitcnt lgkmcnt(5)
	v_lshrrev_b32_e32 v44, 16, v17
	v_lshrrev_b32_e32 v34, 16, v7
	;; [unrolled: 1-line block ×3, first 2 shown]
	s_waitcnt lgkmcnt(2)
	v_lshrrev_b32_e32 v37, 16, v22
	s_waitcnt lgkmcnt(1)
	v_lshrrev_b32_e32 v39, 16, v24
	v_lshrrev_b32_e32 v40, 16, v23
	v_lshrrev_b32_e32 v42, 16, v25
	s_mov_b32 s0, 0xbaee
	s_movk_i32 s1, 0x3aee
	v_lshrrev_b32_e32 v35, 16, v29
	v_lshrrev_b32_e32 v36, 16, v20
	;; [unrolled: 1-line block ×4, first 2 shown]
	s_waitcnt lgkmcnt(0)
	; wave barrier
	s_waitcnt vmcnt(4) lgkmcnt(0)
	v_mul_f16_sdwa v45, v8, v44 dst_sel:DWORD dst_unused:UNUSED_PAD src0_sel:WORD_1 src1_sel:DWORD
	v_fma_f16 v45, v8, v17, v45
	v_mul_f16_sdwa v17, v8, v17 dst_sel:DWORD dst_unused:UNUSED_PAD src0_sel:WORD_1 src1_sel:DWORD
	v_fma_f16 v8, v8, v44, -v17
	v_lshrrev_b32_e32 v17, 16, v18
	v_mul_f16_sdwa v44, v9, v17 dst_sel:DWORD dst_unused:UNUSED_PAD src0_sel:WORD_1 src1_sel:DWORD
	v_fma_f16 v44, v9, v18, v44
	v_mul_f16_sdwa v18, v9, v18 dst_sel:DWORD dst_unused:UNUSED_PAD src0_sel:WORD_1 src1_sel:DWORD
	v_fma_f16 v9, v9, v17, -v18
	v_lshrrev_b32_e32 v17, 16, v26
	s_waitcnt vmcnt(3)
	v_mul_f16_sdwa v18, v10, v17 dst_sel:DWORD dst_unused:UNUSED_PAD src0_sel:WORD_1 src1_sel:DWORD
	v_fma_f16 v18, v10, v26, v18
	v_mul_f16_sdwa v26, v10, v26 dst_sel:DWORD dst_unused:UNUSED_PAD src0_sel:WORD_1 src1_sel:DWORD
	v_fma_f16 v10, v10, v17, -v26
	v_lshrrev_b32_e32 v17, 16, v19
	v_mul_f16_sdwa v26, v11, v17 dst_sel:DWORD dst_unused:UNUSED_PAD src0_sel:WORD_1 src1_sel:DWORD
	v_fma_f16 v26, v11, v19, v26
	v_mul_f16_sdwa v19, v11, v19 dst_sel:DWORD dst_unused:UNUSED_PAD src0_sel:WORD_1 src1_sel:DWORD
	v_fma_f16 v11, v11, v17, -v19
	s_waitcnt vmcnt(2)
	v_mul_f16_sdwa v17, v28, v12 dst_sel:DWORD dst_unused:UNUSED_PAD src0_sel:DWORD src1_sel:WORD_1
	v_mul_f16_sdwa v19, v12, v27 dst_sel:DWORD dst_unused:UNUSED_PAD src0_sel:WORD_1 src1_sel:DWORD
	v_fma_f16 v17, v12, v27, v17
	v_fma_f16 v12, v28, v12, -v19
	v_mul_f16_sdwa v19, v37, v13 dst_sel:DWORD dst_unused:UNUSED_PAD src0_sel:DWORD src1_sel:WORD_1
	v_fma_f16 v19, v22, v13, v19
	v_mul_f16_sdwa v22, v22, v13 dst_sel:DWORD dst_unused:UNUSED_PAD src0_sel:DWORD src1_sel:WORD_1
	v_fma_f16 v13, v37, v13, -v22
	s_waitcnt vmcnt(1)
	v_mul_f16_sdwa v22, v39, v14 dst_sel:DWORD dst_unused:UNUSED_PAD src0_sel:DWORD src1_sel:WORD_1
	v_fma_f16 v22, v24, v14, v22
	v_mul_f16_sdwa v24, v24, v14 dst_sel:DWORD dst_unused:UNUSED_PAD src0_sel:DWORD src1_sel:WORD_1
	v_fma_f16 v14, v39, v14, -v24
	v_mul_f16_sdwa v24, v40, v15 dst_sel:DWORD dst_unused:UNUSED_PAD src0_sel:DWORD src1_sel:WORD_1
	v_fma_f16 v24, v23, v15, v24
	v_mul_f16_sdwa v23, v23, v15 dst_sel:DWORD dst_unused:UNUSED_PAD src0_sel:DWORD src1_sel:WORD_1
	v_fma_f16 v15, v40, v15, -v23
	s_waitcnt vmcnt(0)
	v_mul_f16_sdwa v23, v42, v0 dst_sel:DWORD dst_unused:UNUSED_PAD src0_sel:DWORD src1_sel:WORD_1
	v_fma_f16 v23, v25, v0, v23
	v_mul_f16_sdwa v25, v25, v0 dst_sel:DWORD dst_unused:UNUSED_PAD src0_sel:DWORD src1_sel:WORD_1
	v_fma_f16 v0, v42, v0, -v25
	v_mul_f16_sdwa v25, v43, v1 dst_sel:DWORD dst_unused:UNUSED_PAD src0_sel:DWORD src1_sel:WORD_1
	v_mul_f16_sdwa v27, v33, v1 dst_sel:DWORD dst_unused:UNUSED_PAD src0_sel:DWORD src1_sel:WORD_1
	v_add_f16_e32 v28, v45, v44
	v_fma_f16 v25, v33, v1, v25
	v_fma_f16 v1, v43, v1, -v27
	v_add_f16_e32 v27, v7, v45
	v_fma_f16 v7, v28, -0.5, v7
	v_sub_f16_e32 v28, v8, v9
	v_fma_f16 v33, v28, s0, v7
	v_fma_f16 v7, v28, s1, v7
	v_add_f16_e32 v28, v34, v8
	v_add_f16_e32 v8, v8, v9
	v_add_f16_e32 v28, v28, v9
	v_fma_f16 v8, v8, -0.5, v34
	v_sub_f16_e32 v9, v45, v44
	v_add_f16_e32 v37, v18, v26
	v_fma_f16 v34, v9, s1, v8
	v_fma_f16 v8, v9, s0, v8
	v_add_f16_e32 v9, v29, v18
	v_fma_f16 v29, v37, -0.5, v29
	v_sub_f16_e32 v37, v10, v11
	v_fma_f16 v39, v37, s0, v29
	v_fma_f16 v29, v37, s1, v29
	v_add_f16_e32 v37, v35, v10
	v_add_f16_e32 v10, v10, v11
	v_add_f16_e32 v9, v9, v26
	v_add_f16_e32 v37, v37, v11
	v_fma_f16 v10, v10, -0.5, v35
	v_sub_f16_e32 v11, v18, v26
	v_add_f16_e32 v26, v17, v19
	v_fma_f16 v18, v11, s1, v10
	v_fma_f16 v10, v11, s0, v10
	v_add_f16_e32 v11, v20, v17
	v_fma_f16 v20, v26, -0.5, v20
	v_sub_f16_e32 v26, v12, v13
	v_fma_f16 v35, v26, s0, v20
	v_fma_f16 v20, v26, s1, v20
	v_add_f16_e32 v26, v36, v12
	;; [unrolled: 14-line block ×4, first 2 shown]
	v_add_f16_e32 v0, v0, v1
	v_add_f16_e32 v27, v27, v44
	;; [unrolled: 1-line block ×3, first 2 shown]
	v_fma_f16 v0, v0, -0.5, v41
	v_sub_f16_e32 v1, v23, v25
	v_fma_f16 v23, v1, s1, v0
	v_fma_f16 v0, v1, s0, v0
	v_pack_b32_f16 v1, v27, v28
	ds_write_b32 v32, v1
	v_pack_b32_f16 v1, v33, v34
	ds_write_b32 v32, v1 offset:260
	v_pack_b32_f16 v1, v7, v8
	ds_write_b32 v32, v1 offset:520
	v_pack_b32_f16 v1, v9, v37
	v_pack_b32_f16 v7, v39, v18
	ds_write2_b32 v6, v1, v7 offset1:65
	v_pack_b32_f16 v1, v29, v10
	ds_write_b32 v6, v1 offset:520
	v_pack_b32_f16 v1, v11, v26
	v_pack_b32_f16 v8, v13, v21
	;; [unrolled: 1-line block ×3, first 2 shown]
	ds_write2_b32 v32, v1, v8 offset0:26 offset1:39
	v_pack_b32_f16 v1, v36, v22
	v_add_f16_e32 v15, v15, v25
	v_pack_b32_f16 v7, v20, v12
	ds_write2_b32 v32, v6, v1 offset0:91 offset1:104
	v_pack_b32_f16 v1, v19, v14
	ds_write2_b32 v32, v7, v1 offset0:156 offset1:169
	v_pack_b32_f16 v1, v15, v24
	ds_write_b32 v32, v1 offset:208
	v_pack_b32_f16 v1, v38, v23
	v_pack_b32_f16 v0, v16, v0
	ds_write_b32 v32, v1 offset:468
	ds_write_b32 v32, v0 offset:728
	s_waitcnt lgkmcnt(0)
	; wave barrier
	s_waitcnt lgkmcnt(0)
	s_and_saveexec_b64 s[0:1], vcc
	s_cbranch_execz .LBB0_17
; %bb.16:
	v_mul_lo_u32 v6, s3, v4
	v_mul_lo_u32 v5, s2, v5
	v_mad_u64_u32 v[0:1], s[0:1], s2, v4, 0
	v_lshl_add_u32 v10, v30, 2, v31
	v_add3_u32 v1, v1, v5, v6
	v_mad_u64_u32 v[4:5], s[0:1], s16, v30, 0
	ds_read2_b32 v[8:9], v10 offset1:13
	v_mov_b32_e32 v6, v5
	v_mad_u64_u32 v[6:7], s[0:1], s17, v30, v[6:7]
	v_lshl_add_u64 v[0:1], v[0:1], 2, s[6:7]
	v_mov_b32_e32 v5, v6
	v_lshl_add_u64 v[0:1], v[2:3], 2, v[0:1]
	v_lshl_add_u64 v[2:3], v[4:5], 2, v[0:1]
	v_add_u32_e32 v5, 13, v30
	s_waitcnt lgkmcnt(0)
	global_store_dword v[2:3], v8, off
	v_mad_u64_u32 v[2:3], s[0:1], s16, v5, 0
	v_mov_b32_e32 v4, v3
	v_mad_u64_u32 v[4:5], s[0:1], s17, v5, v[4:5]
	v_mov_b32_e32 v3, v4
	v_lshl_add_u64 v[2:3], v[2:3], 2, v[0:1]
	v_add_u32_e32 v5, 26, v30
	global_store_dword v[2:3], v9, off
	v_mad_u64_u32 v[2:3], s[0:1], s16, v5, 0
	ds_read2_b32 v[6:7], v10 offset0:26 offset1:39
	v_mov_b32_e32 v4, v3
	v_mad_u64_u32 v[4:5], s[0:1], s17, v5, v[4:5]
	v_mov_b32_e32 v3, v4
	v_lshl_add_u64 v[2:3], v[2:3], 2, v[0:1]
	v_add_u32_e32 v5, 39, v30
	s_waitcnt lgkmcnt(0)
	global_store_dword v[2:3], v6, off
	v_mad_u64_u32 v[2:3], s[0:1], s16, v5, 0
	v_mov_b32_e32 v4, v3
	v_mad_u64_u32 v[4:5], s[0:1], s17, v5, v[4:5]
	v_mov_b32_e32 v3, v4
	v_lshl_add_u64 v[2:3], v[2:3], 2, v[0:1]
	v_add_u32_e32 v5, 52, v30
	global_store_dword v[2:3], v7, off
	v_mad_u64_u32 v[2:3], s[0:1], s16, v5, 0
	ds_read2_b32 v[6:7], v10 offset0:52 offset1:65
	v_mov_b32_e32 v4, v3
	v_mad_u64_u32 v[4:5], s[0:1], s17, v5, v[4:5]
	v_mov_b32_e32 v3, v4
	;; [unrolled: 16-line block ×6, first 2 shown]
	v_lshl_add_u64 v[2:3], v[2:3], 2, v[0:1]
	v_add_u32_e32 v5, 0xa9, v30
	s_waitcnt lgkmcnt(0)
	global_store_dword v[2:3], v6, off
	v_mad_u64_u32 v[2:3], s[0:1], s16, v5, 0
	v_mov_b32_e32 v4, v3
	v_mad_u64_u32 v[4:5], s[0:1], s17, v5, v[4:5]
	v_mov_b32_e32 v3, v4
	v_lshl_add_u64 v[2:3], v[2:3], 2, v[0:1]
	v_add_u32_e32 v5, 0xb6, v30
	global_store_dword v[2:3], v7, off
	v_mad_u64_u32 v[2:3], s[0:1], s16, v5, 0
	ds_read_b32 v6, v10 offset:728
	v_mov_b32_e32 v4, v3
	v_mad_u64_u32 v[4:5], s[0:1], s17, v5, v[4:5]
	v_mov_b32_e32 v3, v4
	v_lshl_add_u64 v[0:1], v[2:3], 2, v[0:1]
	s_waitcnt lgkmcnt(0)
	global_store_dword v[0:1], v6, off
.LBB0_17:
	s_endpgm
	.section	.rodata,"a",@progbits
	.p2align	6, 0x0
	.amdhsa_kernel fft_rtc_back_len195_factors_13_5_3_wgs_52_tpt_13_half_op_CI_CI_sbrr_dirReg
		.amdhsa_group_segment_fixed_size 0
		.amdhsa_private_segment_fixed_size 0
		.amdhsa_kernarg_size 104
		.amdhsa_user_sgpr_count 2
		.amdhsa_user_sgpr_dispatch_ptr 0
		.amdhsa_user_sgpr_queue_ptr 0
		.amdhsa_user_sgpr_kernarg_segment_ptr 1
		.amdhsa_user_sgpr_dispatch_id 0
		.amdhsa_user_sgpr_kernarg_preload_length 0
		.amdhsa_user_sgpr_kernarg_preload_offset 0
		.amdhsa_user_sgpr_private_segment_size 0
		.amdhsa_uses_dynamic_stack 0
		.amdhsa_enable_private_segment 0
		.amdhsa_system_sgpr_workgroup_id_x 1
		.amdhsa_system_sgpr_workgroup_id_y 0
		.amdhsa_system_sgpr_workgroup_id_z 0
		.amdhsa_system_sgpr_workgroup_info 0
		.amdhsa_system_vgpr_workitem_id 0
		.amdhsa_next_free_vgpr 87
		.amdhsa_next_free_sgpr 32
		.amdhsa_accum_offset 88
		.amdhsa_reserve_vcc 1
		.amdhsa_float_round_mode_32 0
		.amdhsa_float_round_mode_16_64 0
		.amdhsa_float_denorm_mode_32 3
		.amdhsa_float_denorm_mode_16_64 3
		.amdhsa_dx10_clamp 1
		.amdhsa_ieee_mode 1
		.amdhsa_fp16_overflow 0
		.amdhsa_tg_split 0
		.amdhsa_exception_fp_ieee_invalid_op 0
		.amdhsa_exception_fp_denorm_src 0
		.amdhsa_exception_fp_ieee_div_zero 0
		.amdhsa_exception_fp_ieee_overflow 0
		.amdhsa_exception_fp_ieee_underflow 0
		.amdhsa_exception_fp_ieee_inexact 0
		.amdhsa_exception_int_div_zero 0
	.end_amdhsa_kernel
	.text
.Lfunc_end0:
	.size	fft_rtc_back_len195_factors_13_5_3_wgs_52_tpt_13_half_op_CI_CI_sbrr_dirReg, .Lfunc_end0-fft_rtc_back_len195_factors_13_5_3_wgs_52_tpt_13_half_op_CI_CI_sbrr_dirReg
                                        ; -- End function
	.section	.AMDGPU.csdata,"",@progbits
; Kernel info:
; codeLenInByte = 11600
; NumSgprs: 38
; NumVgprs: 87
; NumAgprs: 0
; TotalNumVgprs: 87
; ScratchSize: 0
; MemoryBound: 0
; FloatMode: 240
; IeeeMode: 1
; LDSByteSize: 0 bytes/workgroup (compile time only)
; SGPRBlocks: 4
; VGPRBlocks: 10
; NumSGPRsForWavesPerEU: 38
; NumVGPRsForWavesPerEU: 87
; AccumOffset: 88
; Occupancy: 5
; WaveLimiterHint : 1
; COMPUTE_PGM_RSRC2:SCRATCH_EN: 0
; COMPUTE_PGM_RSRC2:USER_SGPR: 2
; COMPUTE_PGM_RSRC2:TRAP_HANDLER: 0
; COMPUTE_PGM_RSRC2:TGID_X_EN: 1
; COMPUTE_PGM_RSRC2:TGID_Y_EN: 0
; COMPUTE_PGM_RSRC2:TGID_Z_EN: 0
; COMPUTE_PGM_RSRC2:TIDIG_COMP_CNT: 0
; COMPUTE_PGM_RSRC3_GFX90A:ACCUM_OFFSET: 21
; COMPUTE_PGM_RSRC3_GFX90A:TG_SPLIT: 0
	.text
	.p2alignl 6, 3212836864
	.fill 256, 4, 3212836864
	.type	__hip_cuid_e7110a515e839c3,@object ; @__hip_cuid_e7110a515e839c3
	.section	.bss,"aw",@nobits
	.globl	__hip_cuid_e7110a515e839c3
__hip_cuid_e7110a515e839c3:
	.byte	0                               ; 0x0
	.size	__hip_cuid_e7110a515e839c3, 1

	.ident	"AMD clang version 19.0.0git (https://github.com/RadeonOpenCompute/llvm-project roc-6.4.0 25133 c7fe45cf4b819c5991fe208aaa96edf142730f1d)"
	.section	".note.GNU-stack","",@progbits
	.addrsig
	.addrsig_sym __hip_cuid_e7110a515e839c3
	.amdgpu_metadata
---
amdhsa.kernels:
  - .agpr_count:     0
    .args:
      - .actual_access:  read_only
        .address_space:  global
        .offset:         0
        .size:           8
        .value_kind:     global_buffer
      - .offset:         8
        .size:           8
        .value_kind:     by_value
      - .actual_access:  read_only
        .address_space:  global
        .offset:         16
        .size:           8
        .value_kind:     global_buffer
      - .actual_access:  read_only
        .address_space:  global
        .offset:         24
        .size:           8
        .value_kind:     global_buffer
      - .actual_access:  read_only
        .address_space:  global
        .offset:         32
        .size:           8
        .value_kind:     global_buffer
      - .offset:         40
        .size:           8
        .value_kind:     by_value
      - .actual_access:  read_only
        .address_space:  global
        .offset:         48
        .size:           8
        .value_kind:     global_buffer
      - .actual_access:  read_only
        .address_space:  global
        .offset:         56
        .size:           8
        .value_kind:     global_buffer
      - .offset:         64
        .size:           4
        .value_kind:     by_value
      - .actual_access:  read_only
        .address_space:  global
        .offset:         72
        .size:           8
        .value_kind:     global_buffer
      - .actual_access:  read_only
        .address_space:  global
        .offset:         80
        .size:           8
        .value_kind:     global_buffer
      - .actual_access:  read_only
        .address_space:  global
        .offset:         88
        .size:           8
        .value_kind:     global_buffer
      - .actual_access:  write_only
        .address_space:  global
        .offset:         96
        .size:           8
        .value_kind:     global_buffer
    .group_segment_fixed_size: 0
    .kernarg_segment_align: 8
    .kernarg_segment_size: 104
    .language:       OpenCL C
    .language_version:
      - 2
      - 0
    .max_flat_workgroup_size: 52
    .name:           fft_rtc_back_len195_factors_13_5_3_wgs_52_tpt_13_half_op_CI_CI_sbrr_dirReg
    .private_segment_fixed_size: 0
    .sgpr_count:     38
    .sgpr_spill_count: 0
    .symbol:         fft_rtc_back_len195_factors_13_5_3_wgs_52_tpt_13_half_op_CI_CI_sbrr_dirReg.kd
    .uniform_work_group_size: 1
    .uses_dynamic_stack: false
    .vgpr_count:     87
    .vgpr_spill_count: 0
    .wavefront_size: 64
amdhsa.target:   amdgcn-amd-amdhsa--gfx950
amdhsa.version:
  - 1
  - 2
...

	.end_amdgpu_metadata
